;; amdgpu-corpus repo=ROCm/aiter kind=harvested arch=n/a opt=n/a

/root/src/amdgpu-assembly/repos/ROCm__aiter/hsa/gfx950/f8_block_scale_mi350_x64.co:	file format elf64-amdgpu

Disassembly of section .text:

0000000000002900 <f8_block_scale_mi350_x64>:
	s_and_b32 s1, s1, 0xffff                                   // 000000002900: 8601FF01 0000FFFF
	s_load_dwordx2 s[8:9], s[0:1], 0x0                         // 000000002908: C0060200 00000000
	s_load_dwordx2 s[20:21], s[0:1], 0x10                      // 000000002910: C0060500 00000010
	s_load_dwordx2 s[24:25], s[0:1], 0x20                      // 000000002918: C0060600 00000020
	s_load_dwordx2 s[28:29], s[0:1], 0x40                      // 000000002920: C0060700 00000040
	s_load_dwordx2 s[32:33], s[0:1], 0x50                      // 000000002928: C0060800 00000050
	s_mov_b32 s75, 0                                           // 000000002930: BECB0080
	s_load_dword s60, s[0:1], 0x90                             // 000000002934: C0020F00 00000090
	s_load_dword s61, s[0:1], 0xa0                             // 00000000293C: C0020F40 000000A0
	s_load_dword s62, s[0:1], 0xb0                             // 000000002944: C0020F80 000000B0
	s_load_dword s63, s[0:1], 0xc0                             // 00000000294C: C0020FC0 000000C0
	s_load_dword s64, s[0:1], 0xd0                             // 000000002954: C0021000 000000D0
	s_load_dword s65, s[0:1], 0xe0                             // 00000000295C: C0021040 000000E0
	s_load_dword s66, s[0:1], 0xf0                             // 000000002964: C0021080 000000F0
	s_load_dword s74, s[0:1], 0x140                            // 00000000296C: C0021280 00000140
	s_load_dword s75, s[0:1], 0x150                            // 000000002974: C00212C0 00000150
	v_lshrrev_b32_e32 v1, 10, v0                               // 00000000297C: 2002008A
	v_lshrrev_b32_e32 v2, 10, v1                               // 000000002980: 2004028A
	v_and_b32_e32 v2, 0x3ff, v2                                // 000000002984: 260404FF 000003FF
	v_and_b32_e32 v1, 0x3ff, v1                                // 00000000298C: 260202FF 000003FF
	v_and_b32_e32 v0, 0x3ff, v0                                // 000000002994: 260000FF 000003FF
	v_lshrrev_b32_e32 v3, 6, v0                                // 00000000299C: 20060086
	v_and_b32_e32 v0, 63, v0                                   // 0000000029A0: 260000BF
	s_mov_b32 s2, s2                                           // 0000000029A4: BE820002
	s_mov_b32 s3, s3                                           // 0000000029A8: BE830003
	s_mov_b32 s4, s4                                           // 0000000029AC: BE840004
	v_readfirstlane_b32 s7, v3                                 // 0000000029B0: 7E0E0503
	s_waitcnt lgkmcnt(0)                                       // 0000000029B4: BF8CC07F
	s_mov_b32 s46, s62                                         // 0000000029B8: BEAE003E
	s_and_b32 s9, s9, 0xffff                                   // 0000000029BC: 8609FF09 0000FFFF
	s_mul_i32 s52, s62, s64                                    // 0000000029C4: 9234403E
	s_mul_i32 s53, s62, 4                                      // 0000000029C8: 9235843E
	s_mov_b32 s22, s52                                         // 0000000029CC: BE960034
	s_mul_i32 s52, s60, s61                                    // 0000000029D0: 92343D3C
	s_mov_b32 s26, s52                                         // 0000000029D4: BE9A0034
	s_mov_b32 s30, s53                                         // 0000000029D8: BE9E0035
	s_mov_b32 s10, -16                                         // 0000000029DC: BE8A00D0
	s_lshr_b32 s52, s60, 7                                     // 0000000029E0: 8F34873C
	s_mul_i32 s53, s52, 4                                      // 0000000029E4: 92358434
	s_lshr_b32 s52, s61, 7                                     // 0000000029E8: 8F34873D
	s_mul_i32 s52, s52, s53                                    // 0000000029EC: 92343534
	s_mov_b32 s34, s52                                         // 0000000029F0: BEA20034
	s_mov_b32 s23, 0x20000                                     // 0000000029F4: BE9700FF 00020000
	s_mov_b32 s27, 0x20000                                     // 0000000029FC: BE9B00FF 00020000
	s_mov_b32 s31, 0x20000                                     // 000000002A04: BE9F00FF 00020000
	s_mov_b32 s35, 0x20000                                     // 000000002A0C: BEA300FF 00020000
	s_mov_b32 s11, 0x20000                                     // 000000002A14: BE8B00FF 00020000
	s_and_b32 s21, s21, 0xffff                                 // 000000002A1C: 8615FF15 0000FFFF
	s_and_b32 s25, s25, 0xffff                                 // 000000002A24: 8619FF19 0000FFFF
	s_and_b32 s29, s29, 0xffff                                 // 000000002A2C: 861DFF1D 0000FFFF
	s_and_b32 s33, s33, 0xffff                                 // 000000002A34: 8621FF21 0000FFFF
	s_or_b32 s21, s21, 0x40000                                 // 000000002A3C: 8715FF15 00040000
	s_or_b32 s25, s25, 0x40000                                 // 000000002A44: 8719FF19 00040000
	s_or_b32 s29, s29, 0x40000                                 // 000000002A4C: 871DFF1D 00040000
	s_or_b32 s33, s33, 0x40000                                 // 000000002A54: 8721FF21 00040000
	v_accvgpr_write_b32 a95, 0                                 // 000000002A5C: D3D9405F 18000080
	v_mov_b32_e32 v111, 0                                      // 000000002A64: 7EDE0280
	s_waitcnt lgkmcnt(0)                                       // 000000002A68: BF8CC07F
	s_mul_i32 s52, s3, 64                                      // 000000002A6C: 9234C003
	s_cmp_lt_i32 s52, s46                                      // 000000002A70: BF042E34
	s_cbranch_scc0 label_117A                                  // 000000002A74: BF841119
	s_mov_b32 s70, 0                                           // 000000002A78: BEC60080
	s_lshr_b32 s71, s60, s74                                   // 000000002A7C: 8F474A3C
	s_mul_i32 s52, s3, 64                                      // 000000002A80: 9234C003
	v_and_b32_e32 v4, 15, v0                                   // 000000002A84: 2608008F
	v_add_u32_e64 v24, v4, s52                                 // 000000002A88: D1340018 00006904
	v_add_u32_e32 v4, 16, v4                                   // 000000002A90: 68080890
	v_add_u32_e64 v25, v4, s52                                 // 000000002A94: D1340019 00006904
	v_add_u32_e32 v4, 16, v4                                   // 000000002A9C: 68080890
	v_add_u32_e64 v26, v4, s52                                 // 000000002AA0: D134001A 00006904
	v_add_u32_e32 v4, 16, v4                                   // 000000002AA8: 68080890
	v_add_u32_e64 v27, v4, s52                                 // 000000002AAC: D134001B 00006904
	v_add_u32_e32 v4, 16, v4                                   // 000000002AB4: 68080890
	v_lshlrev_b32_e32 v4, 2, v0                                // 000000002AB8: 24080082
	v_add_u32_e32 v4, s7, v4                                   // 000000002ABC: 68080807
	v_add_u32_e32 v4, s52, v4                                  // 000000002AC0: 68080834
	v_mov_b32_e32 v3, v4                                       // 000000002AC4: 7E060304
	s_lshr_b32 s53, s7, 1                                      // 000000002AC8: 8F358107
	s_mul_i32 s53, s53, 8                                      // 000000002ACC: 92358835
	s_add_u32 s52, s53, s52                                    // 000000002AD0: 80343435
	s_and_b32 s53, s7, 1                                       // 000000002AD4: 86358107
	s_mul_i32 s53, s53, 2                                      // 000000002AD8: 92358235
	s_add_u32 s52, s53, s52                                    // 000000002ADC: 80343435
	v_lshrrev_b32_e32 v4, 3, v0                                // 000000002AE0: 20080083
	v_mul_u32_u24_e32 v7, 32, v4                               // 000000002AE4: 100E08A0
	v_and_b32_e32 v4, 7, v0                                    // 000000002AE8: 26080087
	v_lshrrev_b32_e32 v4, 2, v4                                // 000000002AEC: 20080882
	v_mul_u32_u24_e32 v4, 16, v4                               // 000000002AF0: 10080890
	v_add_u32_e32 v7, v7, v4                                   // 000000002AF4: 680E0907
	v_and_b32_e32 v4, 3, v0                                    // 000000002AF8: 26080083
	v_lshrrev_b32_e32 v4, 1, v4                                // 000000002AFC: 20080881
	v_mul_u32_u24_e32 v4, 4, v4                                // 000000002B00: 10080884
	v_add_u32_e32 v7, v7, v4                                   // 000000002B04: 680E0907
	v_and_b32_e32 v4, 1, v0                                    // 000000002B08: 26080081
	v_add_u32_e32 v7, v7, v4                                   // 000000002B0C: 680E0907
	v_add_u32_e32 v7, s52, v7                                  // 000000002B10: 680E0E34
	v_mov_b32_e32 v44, v7                                      // 000000002B14: 7E580307
	v_mov_b32_e32 v48, 0                                       // 000000002B18: 7E600280
	v_mov_b32_e32 v80, 0                                       // 000000002B1C: 7EA00280
	v_mov_b32_e32 v49, 0                                       // 000000002B20: 7E620280
	v_mov_b32_e32 v81, 0                                       // 000000002B24: 7EA20280
	v_mov_b32_e32 v50, 0                                       // 000000002B28: 7E640280
	v_mov_b32_e32 v82, 0                                       // 000000002B2C: 7EA40280
	v_mov_b32_e32 v51, 0                                       // 000000002B30: 7E660280
	v_mov_b32_e32 v83, 0                                       // 000000002B34: 7EA60280
	v_mov_b32_e32 v52, 0                                       // 000000002B38: 7E680280
	v_mov_b32_e32 v84, 0                                       // 000000002B3C: 7EA80280
	v_mov_b32_e32 v53, 0                                       // 000000002B40: 7E6A0280
	v_mov_b32_e32 v85, 0                                       // 000000002B44: 7EAA0280
	v_mov_b32_e32 v54, 0                                       // 000000002B48: 7E6C0280
	v_mov_b32_e32 v86, 0                                       // 000000002B4C: 7EAC0280
	v_mov_b32_e32 v55, 0                                       // 000000002B50: 7E6E0280
	v_mov_b32_e32 v87, 0                                       // 000000002B54: 7EAE0280
	v_mov_b32_e32 v56, 0                                       // 000000002B58: 7E700280
	v_mov_b32_e32 v88, 0                                       // 000000002B5C: 7EB00280
	v_mov_b32_e32 v57, 0                                       // 000000002B60: 7E720280
	v_mov_b32_e32 v89, 0                                       // 000000002B64: 7EB20280
	v_mov_b32_e32 v58, 0                                       // 000000002B68: 7E740280
	v_mov_b32_e32 v90, 0                                       // 000000002B6C: 7EB40280
	v_mov_b32_e32 v59, 0                                       // 000000002B70: 7E760280
	v_mov_b32_e32 v91, 0                                       // 000000002B74: 7EB60280
	v_mov_b32_e32 v60, 0                                       // 000000002B78: 7E780280
	v_mov_b32_e32 v92, 0                                       // 000000002B7C: 7EB80280
	v_mov_b32_e32 v61, 0                                       // 000000002B80: 7E7A0280
	v_mov_b32_e32 v93, 0                                       // 000000002B84: 7EBA0280
	v_mov_b32_e32 v62, 0                                       // 000000002B88: 7E7C0280
	v_mov_b32_e32 v94, 0                                       // 000000002B8C: 7EBC0280
	v_mov_b32_e32 v63, 0                                       // 000000002B90: 7E7E0280
	v_mov_b32_e32 v95, 0                                       // 000000002B94: 7EBE0280
	v_mov_b32_e32 v64, 0                                       // 000000002B98: 7E800280
	v_mov_b32_e32 v96, 0                                       // 000000002B9C: 7EC00280
	v_mov_b32_e32 v65, 0                                       // 000000002BA0: 7E820280
	v_mov_b32_e32 v97, 0                                       // 000000002BA4: 7EC20280
	v_mov_b32_e32 v66, 0                                       // 000000002BA8: 7E840280
	v_mov_b32_e32 v98, 0                                       // 000000002BAC: 7EC40280
	v_mov_b32_e32 v67, 0                                       // 000000002BB0: 7E860280
	v_mov_b32_e32 v99, 0                                       // 000000002BB4: 7EC60280
	v_mov_b32_e32 v68, 0                                       // 000000002BB8: 7E880280
	v_mov_b32_e32 v100, 0                                      // 000000002BBC: 7EC80280
	v_mov_b32_e32 v69, 0                                       // 000000002BC0: 7E8A0280
	v_mov_b32_e32 v101, 0                                      // 000000002BC4: 7ECA0280
	v_mov_b32_e32 v70, 0                                       // 000000002BC8: 7E8C0280
	v_mov_b32_e32 v102, 0                                      // 000000002BCC: 7ECC0280
	v_mov_b32_e32 v71, 0                                       // 000000002BD0: 7E8E0280
	v_mov_b32_e32 v103, 0                                      // 000000002BD4: 7ECE0280
	v_mov_b32_e32 v72, 0                                       // 000000002BD8: 7E900280
	v_mov_b32_e32 v104, 0                                      // 000000002BDC: 7ED00280
	v_mov_b32_e32 v73, 0                                       // 000000002BE0: 7E920280
	v_mov_b32_e32 v105, 0                                      // 000000002BE4: 7ED20280
	v_mov_b32_e32 v74, 0                                       // 000000002BE8: 7E940280
	v_mov_b32_e32 v106, 0                                      // 000000002BEC: 7ED40280
	v_mov_b32_e32 v75, 0                                       // 000000002BF0: 7E960280
	v_mov_b32_e32 v107, 0                                      // 000000002BF4: 7ED60280
	v_mov_b32_e32 v76, 0                                       // 000000002BF8: 7E980280
	v_mov_b32_e32 v108, 0                                      // 000000002BFC: 7ED80280
	v_mov_b32_e32 v77, 0                                       // 000000002C00: 7E9A0280
	v_mov_b32_e32 v109, 0                                      // 000000002C04: 7EDA0280
	v_mov_b32_e32 v78, 0                                       // 000000002C08: 7E9C0280
	v_mov_b32_e32 v110, 0                                      // 000000002C0C: 7EDC0280
	v_mov_b32_e32 v79, 0                                       // 000000002C10: 7E9E0280
	v_mov_b32_e32 v111, 0                                      // 000000002C14: 7EDE0280
	s_mul_i32 s52, s2, 0x200                                   // 000000002C18: 9234FF02 00000200
	s_cmp_eq_u32 s74, 0                                        // 000000002C20: BF06804A
	s_cselect_b32 s53, 1, 2                                    // 000000002C24: 85358281
	s_mul_i32 s52, s52, s53                                    // 000000002C28: 92343534
	s_mov_b32 s80, s8                                          // 000000002C2C: BED00008
	s_mov_b32 s81, s9                                          // 000000002C30: BED10009
	s_add_u32 s8, s52, s8                                      // 000000002C34: 80080834
	s_addc_u32 s9, 0, s9                                       // 000000002C38: 82090980
	v_lshrrev_b32_e32 v4, 4, v0                                // 000000002C3C: 20080084
	v_mul_lo_u32 v16, 34, v4                                   // 000000002C40: D2850010 000208A2
	v_and_b32_e32 v4, 15, v0                                   // 000000002C48: 2608008F
	v_mul_lo_u32 v5, 2, v4                                     // 000000002C4C: D2850005 00020882
	v_add_u32_e32 v16, v5, v16                                 // 000000002C54: 68202105
	s_mul_i32 s52, s7, 0x88                                    // 000000002C58: 9234FF07 00000088
	v_add_u32_e32 v16, s52, v16                                // 000000002C60: 68202034
	v_lshlrev_b32_e32 v16, 2, v16                              // 000000002C64: 24202082
	v_and_b32_e32 v4, 31, v0                                   // 000000002C68: 2608009F
	v_lshrrev_b32_e32 v4, 1, v4                                // 000000002C6C: 20080881
	v_mul_lo_u32 v17, 34, v4                                   // 000000002C70: D2850011 000208A2
	v_lshrrev_b32_e32 v4, 5, v0                                // 000000002C78: 20080085
	v_mul_lo_u32 v4, 8, v4                                     // 000000002C7C: D2850004 00020888
	v_add_u32_e32 v17, v17, v4                                 // 000000002C84: 68220911
	v_and_b32_e32 v5, 1, v0                                    // 000000002C88: 260A0081
	v_add_u32_e32 v17, v5, v17                                 // 000000002C8C: 68222305
	s_mul_i32 s52, s7, 2                                       // 000000002C90: 92348207
	v_add_u32_e32 v17, s52, v17                                // 000000002C94: 68222234
	v_lshlrev_b32_e32 v17, 2, v17                              // 000000002C98: 24222282
	s_mul_i32 s52, s7, 0x820                                   // 000000002C9C: 9234FF07 00000820
	s_add_u32 s46, 0, s52                                      // 000000002CA4: 802E3480
	s_add_u32 s47, 0x2080, s46                                 // 000000002CA8: 802F2EFF 00002080
	v_and_b32_e32 v4, 15, v0                                   // 000000002CB0: 2608008F
	v_lshrrev_b32_e32 v5, 3, v4                                // 000000002CB4: 200A0883
	v_mul_i32_i24_e32 v5, 2, v5                                // 000000002CB8: 0C0A0A82
	v_and_b32_e32 v4, 3, v0                                    // 000000002CBC: 26080083
	v_lshrrev_b32_e32 v6, 1, v4                                // 000000002CC0: 200C0881
	v_add_u32_e32 v4, v5, v6                                   // 000000002CC4: 68080D05
	v_mul_i32_i24_e32 v2, 0x820, v4                            // 000000002CC8: 0C0408FF 00000820
	v_and_b32_e32 v4, 7, v0                                    // 000000002CD0: 26080087
	v_lshrrev_b32_e32 v5, 2, v4                                // 000000002CD4: 200A0882
	v_mul_i32_i24_e32 v5, 0x100, v5                            // 000000002CD8: 0C0A0AFF 00000100
	v_and_b32_e32 v4, 1, v0                                    // 000000002CE0: 26080081
	v_mul_i32_i24_e32 v6, 0x80, v4                             // 000000002CE4: 0C0C08FF 00000080
	v_add_u32_e32 v2, v5, v2                                   // 000000002CEC: 68040505
	v_add_u32_e32 v2, v6, v2                                   // 000000002CF0: 68040506
	v_lshrrev_b32_e32 v4, 4, v0                                // 000000002CF4: 20080084
	v_mul_i32_i24_e32 v4, 16, v4                               // 000000002CF8: 0C080890
	v_add_u32_e32 v2, v4, v2                                   // 000000002CFC: 68040504
	s_waitcnt lgkmcnt(0)                                       // 000000002D00: BF8CC07F
	s_mul_i32 s52, s2, 0x100                                   // 000000002D04: 9234FF02 00000100
	s_mul_i32 s52, s52, s65                                    // 000000002D0C: 92344134
	s_add_u32 s24, s52, s24                                    // 000000002D10: 80181834
	s_addc_u32 s25, 0, s25                                     // 000000002D14: 82191980
	s_lshr_b32 s52, s60, s74                                   // 000000002D18: 8F344A3C
	s_mul_i32 s52, s4, s52                                     // 000000002D1C: 92343404
	s_lshr_b32 s52, s52, 7                                     // 000000002D20: 8F348734
	s_mul_i32 s52, s52, 0x800                                  // 000000002D24: 9234FF34 00000800
	s_add_u32 s24, s52, s24                                    // 000000002D2C: 80181834
	s_addc_u32 s25, 0, s25                                     // 000000002D30: 82191980
	s_lshr_b32 s52, s65, s74                                   // 000000002D34: 8F344A41
	s_mul_i32 s52, s4, s52                                     // 000000002D38: 92343404
	s_add_u32 s20, s52, s20                                    // 000000002D3C: 80141434
	s_addc_u32 s21, 0, s21                                     // 000000002D40: 82151580
	s_mul_i32 s52, s7, 16                                      // 000000002D44: 92349007
	s_mul_i32 s52, s52, s65                                    // 000000002D48: 92344134
	v_lshlrev_b32_e32 v42, 4, v0                               // 000000002D4C: 24540084
	v_add_u32_e32 v42, s52, v42                                // 000000002D50: 68545434
	s_mul_i32 s52, 64, s65                                     // 000000002D54: 923441C0
	v_add_u32_e32 v43, s52, v42                                // 000000002D58: 68565434
	s_mov_b32 s76, s24                                         // 000000002D5C: BECC0018
	s_mov_b32 s77, s25                                         // 000000002D60: BECD0019
	s_mov_b32 s78, s26                                         // 000000002D64: BECE001A
	s_mov_b32 s79, s27                                         // 000000002D68: BECF001B
	s_lshl_b32 s52, s65, 7                                     // 000000002D6C: 8E348741
	s_add_u32 s76, s52, s76                                    // 000000002D70: 804C4C34
	s_addc_u32 s77, 0, s77                                     // 000000002D74: 824D4D80
	s_lshr_b32 s52, s60, 7                                     // 000000002D78: 8F34873C
	s_mul_i32 s53, s52, 4                                      // 000000002D7C: 92358434
	v_and_b32_e32 v18, 0, v0                                   // 000000002D80: 26240080
	v_mul_lo_u32 v18, v18, s53                                 // 000000002D84: D2850012 00006B12
	s_lshr_b32 s52, s60, 7                                     // 000000002D8C: 8F34873C
	s_mul_i32 s52, s52, 4                                      // 000000002D90: 92348434
	v_add_u32_e64 v19, v18, s52                                // 000000002D94: D1340013 00006912
	s_mul_i32 s52, s2, 2                                       // 000000002D9C: 92348202
	s_mul_i32 s52, s52, s53                                    // 000000002DA0: 92343534
	s_add_u32 s32, s52, s32                                    // 000000002DA4: 80202034
	s_addc_u32 s33, 0, s33                                     // 000000002DA8: 82212180
	s_lshr_b32 s52, s60, 7                                     // 000000002DAC: 8F34873C
	s_lshr_b32 s52, s52, s74                                   // 000000002DB0: 8F344A34
	s_mul_i32 s52, s4, s52                                     // 000000002DB4: 92343404
	s_mul_i32 s53, s52, 4                                      // 000000002DB8: 92358434
	s_add_u32 s32, s53, s32                                    // 000000002DBC: 80202035
	s_addc_u32 s33, 0, s33                                     // 000000002DC0: 82212180
	s_lshl_b32 s54, s62, 2                                     // 000000002DC4: 8E36823E
	s_mul_i32 s54, s52, s54                                    // 000000002DC8: 92363634
	s_add_u32 s28, s54, s28                                    // 000000002DCC: 801C1C36
	s_addc_u32 s29, 0, s29                                     // 000000002DD0: 821D1D80
	s_mov_b32 s4, 4                                            // 000000002DD4: BE840084
	s_mov_b32 s57, 0x80                                        // 000000002DD8: BEB900FF 00000080
	s_mov_b32 s58, 0x800                                       // 000000002DE0: BEBA00FF 00000800
	s_lshl_b32 s73, s65, 7                                     // 000000002DE8: 8E498741
	s_mov_b32 m0, s46                                          // 000000002DEC: BEFC002E
	s_waitcnt vmcnt(0) expcnt(0) lgkmcnt(0)                    // 000000002DF0: BF8C0000
	s_mov_b32 s54, -1                                          // 000000002DF4: BEB600C1
	s_mov_b32 s55, -1                                          // 000000002DF8: BEB700C1
	s_mov_b32 s16, 0                                           // 000000002DFC: BE900080
	s_mov_b32 s17, 0                                           // 000000002E00: BE910080
	v_readlane_b32 s72, v44, 0                                 // 000000002E04: D2890048 0001012C
	s_mul_i32 s52, s72, s64                                    // 000000002E0C: 92344048
	s_lshl_b32 s16, 0xff, 0                                    // 000000002E10: 8E1080FF 000000FF
	s_mov_b32 s17, 0                                           // 000000002E18: BE910080
	s_mov_b64 exec, s[16:17]                                   // 000000002E1C: BEFE0110
	v_mov_b32_e32 v40, s52                                     // 000000002E20: 7E500234
	s_mov_b64 exec, s[54:55]                                   // 000000002E24: BEFE0136
	v_readlane_b32 s72, v44, 1                                 // 000000002E28: D2890048 0001032C
	s_mul_i32 s52, s72, s64                                    // 000000002E30: 92344048
	s_lshl_b32 s16, 0xff, 8                                    // 000000002E34: 8E1088FF 000000FF
	s_mov_b64 exec, s[16:17]                                   // 000000002E3C: BEFE0110
	v_mov_b32_e32 v40, s52                                     // 000000002E40: 7E500234
	s_mov_b64 exec, s[54:55]                                   // 000000002E44: BEFE0136
	v_readlane_b32 s72, v44, 2                                 // 000000002E48: D2890048 0001052C
	s_mul_i32 s52, s72, s64                                    // 000000002E50: 92344048
	s_lshl_b32 s16, 0xff, 16                                   // 000000002E54: 8E1090FF 000000FF
	s_mov_b64 exec, s[16:17]                                   // 000000002E5C: BEFE0110
	v_mov_b32_e32 v40, s52                                     // 000000002E60: 7E500234
	s_mov_b64 exec, s[54:55]                                   // 000000002E64: BEFE0136
	v_readlane_b32 s72, v44, 3                                 // 000000002E68: D2890048 0001072C
	s_mul_i32 s52, s72, s64                                    // 000000002E70: 92344048
	s_lshl_b32 s16, 0xff, 24                                   // 000000002E74: 8E1098FF 000000FF
	s_mov_b64 exec, s[16:17]                                   // 000000002E7C: BEFE0110
	v_mov_b32_e32 v40, s52                                     // 000000002E80: 7E500234
	s_mov_b64 exec, s[54:55]                                   // 000000002E84: BEFE0136
	v_readlane_b32 s72, v44, 4                                 // 000000002E88: D2890048 0001092C
	s_mul_i32 s52, s72, s64                                    // 000000002E90: 92344048
	s_lshl_b32 s17, 0xff, 0                                    // 000000002E94: 8E1180FF 000000FF
	s_mov_b32 s16, 0                                           // 000000002E9C: BE900080
	s_mov_b64 exec, s[16:17]                                   // 000000002EA0: BEFE0110
	v_mov_b32_e32 v40, s52                                     // 000000002EA4: 7E500234
	s_mov_b64 exec, s[54:55]                                   // 000000002EA8: BEFE0136
	v_readlane_b32 s72, v44, 5                                 // 000000002EAC: D2890048 00010B2C
	s_mul_i32 s52, s72, s64                                    // 000000002EB4: 92344048
	s_lshl_b32 s17, 0xff, 8                                    // 000000002EB8: 8E1188FF 000000FF
	s_mov_b64 exec, s[16:17]                                   // 000000002EC0: BEFE0110
	v_mov_b32_e32 v40, s52                                     // 000000002EC4: 7E500234
	s_mov_b64 exec, s[54:55]                                   // 000000002EC8: BEFE0136
	v_readlane_b32 s72, v44, 6                                 // 000000002ECC: D2890048 00010D2C
	s_mul_i32 s52, s72, s64                                    // 000000002ED4: 92344048
	s_lshl_b32 s17, 0xff, 16                                   // 000000002ED8: 8E1190FF 000000FF
	s_mov_b64 exec, s[16:17]                                   // 000000002EE0: BEFE0110
	v_mov_b32_e32 v40, s52                                     // 000000002EE4: 7E500234
	s_mov_b64 exec, s[54:55]                                   // 000000002EE8: BEFE0136
	v_readlane_b32 s72, v44, 7                                 // 000000002EEC: D2890048 00010F2C
	s_mul_i32 s52, s72, s64                                    // 000000002EF4: 92344048
	s_lshl_b32 s17, 0xff, 24                                   // 000000002EF8: 8E1198FF 000000FF
	s_mov_b64 exec, s[16:17]                                   // 000000002F00: BEFE0110
	v_mov_b32_e32 v40, s52                                     // 000000002F04: 7E500234
	s_mov_b64 exec, s[54:55]                                   // 000000002F08: BEFE0136
	v_readlane_b32 s72, v44, 8                                 // 000000002F0C: D2890048 0001112C
	s_mul_i32 s52, s72, s64                                    // 000000002F14: 92344048
	s_lshl_b32 s16, 0xff, 0                                    // 000000002F18: 8E1080FF 000000FF
	s_mov_b32 s17, 0                                           // 000000002F20: BE910080
	s_mov_b64 exec, s[16:17]                                   // 000000002F24: BEFE0110
	v_mov_b32_e32 v41, s52                                     // 000000002F28: 7E520234
	s_mov_b64 exec, s[54:55]                                   // 000000002F2C: BEFE0136
	v_readlane_b32 s72, v44, 9                                 // 000000002F30: D2890048 0001132C
	s_mul_i32 s52, s72, s64                                    // 000000002F38: 92344048
	s_lshl_b32 s16, 0xff, 8                                    // 000000002F3C: 8E1088FF 000000FF
	s_mov_b64 exec, s[16:17]                                   // 000000002F44: BEFE0110
	v_mov_b32_e32 v41, s52                                     // 000000002F48: 7E520234
	s_mov_b64 exec, s[54:55]                                   // 000000002F4C: BEFE0136
	v_readlane_b32 s72, v44, 10                                // 000000002F50: D2890048 0001152C
	s_mul_i32 s52, s72, s64                                    // 000000002F58: 92344048
	s_lshl_b32 s16, 0xff, 16                                   // 000000002F5C: 8E1090FF 000000FF
	s_mov_b64 exec, s[16:17]                                   // 000000002F64: BEFE0110
	v_mov_b32_e32 v41, s52                                     // 000000002F68: 7E520234
	s_mov_b64 exec, s[54:55]                                   // 000000002F6C: BEFE0136
	v_readlane_b32 s72, v44, 11                                // 000000002F70: D2890048 0001172C
	s_mul_i32 s52, s72, s64                                    // 000000002F78: 92344048
	s_lshl_b32 s16, 0xff, 24                                   // 000000002F7C: 8E1098FF 000000FF
	s_mov_b64 exec, s[16:17]                                   // 000000002F84: BEFE0110
	v_mov_b32_e32 v41, s52                                     // 000000002F88: 7E520234
	s_mov_b64 exec, s[54:55]                                   // 000000002F8C: BEFE0136
	v_readlane_b32 s72, v44, 12                                // 000000002F90: D2890048 0001192C
	s_mul_i32 s52, s72, s64                                    // 000000002F98: 92344048
	s_lshl_b32 s17, 0xff, 0                                    // 000000002F9C: 8E1180FF 000000FF
	s_mov_b32 s16, 0                                           // 000000002FA4: BE900080
	s_mov_b64 exec, s[16:17]                                   // 000000002FA8: BEFE0110
	v_mov_b32_e32 v41, s52                                     // 000000002FAC: 7E520234
	s_mov_b64 exec, s[54:55]                                   // 000000002FB0: BEFE0136
	v_readlane_b32 s72, v44, 13                                // 000000002FB4: D2890048 00011B2C
	s_mul_i32 s52, s72, s64                                    // 000000002FBC: 92344048
	s_lshl_b32 s17, 0xff, 8                                    // 000000002FC0: 8E1188FF 000000FF
	s_mov_b64 exec, s[16:17]                                   // 000000002FC8: BEFE0110
	v_mov_b32_e32 v41, s52                                     // 000000002FCC: 7E520234
	s_mov_b64 exec, s[54:55]                                   // 000000002FD0: BEFE0136
	v_readlane_b32 s72, v44, 14                                // 000000002FD4: D2890048 00011D2C
	s_mul_i32 s52, s72, s64                                    // 000000002FDC: 92344048
	s_lshl_b32 s17, 0xff, 16                                   // 000000002FE0: 8E1190FF 000000FF
	s_mov_b64 exec, s[16:17]                                   // 000000002FE8: BEFE0110
	v_mov_b32_e32 v41, s52                                     // 000000002FEC: 7E520234
	s_mov_b64 exec, s[54:55]                                   // 000000002FF0: BEFE0136
	v_readlane_b32 s72, v44, 15                                // 000000002FF4: D2890048 00011F2C
	s_mul_i32 s52, s72, s64                                    // 000000002FFC: 92344048
	s_lshl_b32 s17, 0xff, 24                                   // 000000003000: 8E1198FF 000000FF
	s_mov_b64 exec, s[16:17]                                   // 000000003008: BEFE0110
	v_mov_b32_e32 v41, s52                                     // 00000000300C: 7E520234
	s_mov_b64 exec, s[54:55]                                   // 000000003010: BEFE0136
	v_and_b32_e64 v4, v0, 7                                    // 000000003014: D1130004 00010F00
	v_lshlrev_b32_e32 v4, 4, v4                                // 00000000301C: 24080884
	v_add_u32_e32 v40, v40, v4                                 // 000000003020: 68500928
	v_add_u32_e32 v41, v41, v4                                 // 000000003024: 68520929
	v_lshlrev_b32_e32 v24, 2, v24                              // 000000003028: 24303082
	v_lshlrev_b32_e32 v25, 2, v25                              // 00000000302C: 24323282
	v_lshlrev_b32_e32 v26, 2, v26                              // 000000003030: 24343482
	v_lshlrev_b32_e32 v27, 2, v27                              // 000000003034: 24363682
	s_lshl_b32 s6, s62, 2                                      // 000000003038: 8E06823E
	buffer_load_dwordx4 v40, s[20:23], 0 offen lds             // 00000000303C: E05D1000 80050028
	s_add_u32 m0, 0x400, s46                                   // 000000003044: 807C2EFF 00000400
	buffer_load_dwordx4 v41, s[20:23], 0 offen lds             // 00000000304C: E05D1000 80050029
	s_add_u32 m0, 0, s47                                       // 000000003054: 807C2F80
	s_add_u32 s20, s57, s20                                    // 000000003058: 80141439
	s_addc_u32 s21, 0, s21                                     // 00000000305C: 82151580
	buffer_load_dword v28, v24, s[28:31], 0 offen              // 000000003060: E0501000 80071C18
	buffer_load_dword v29, v25, s[28:31], 0 offen              // 000000003068: E0501000 80071D19
	buffer_load_dword v30, v26, s[28:31], 0 offen              // 000000003070: E0501000 80071E1A
	buffer_load_dword v31, v27, s[28:31], 0 offen              // 000000003078: E0501000 80071F1B
	s_add_u32 s28, s6, s28                                     // 000000003080: 801C1C06
	s_addc_u32 s29, 0, s29                                     // 000000003084: 821D1D80
	buffer_load_dwordx4 v40, s[20:23], 0 offen lds             // 000000003088: E05D1000 80050028
	s_add_u32 m0, 0x400, s47                                   // 000000003090: 807C2FFF 00000400
	buffer_load_dwordx4 v41, s[20:23], 0 offen lds             // 000000003098: E05D1000 80050029
	s_add_u32 m0, 0, s46                                       // 0000000030A0: 807C2E80
	s_add_u32 s20, s57, s20                                    // 0000000030A4: 80141439
	s_addc_u32 s21, 0, s21                                     // 0000000030A8: 82151580
	buffer_load_dword v32, v24, s[28:31], 0 offen              // 0000000030AC: E0501000 80072018
	buffer_load_dword v33, v25, s[28:31], 0 offen              // 0000000030B4: E0501000 80072119
	buffer_load_dword v34, v26, s[28:31], 0 offen              // 0000000030BC: E0501000 8007221A
	buffer_load_dword v35, v27, s[28:31], 0 offen              // 0000000030C4: E0501000 8007231B
	s_add_u32 s28, s6, s28                                     // 0000000030CC: 801C1C06
	s_addc_u32 s29, 0, s29                                     // 0000000030D0: 821D1D80
	buffer_load_dword v20, v18, s[32:35], 0 offen              // 0000000030D4: E0501000 80081412
	buffer_load_dwordx4 a[64:67], v42, s[24:27], 0 offen       // 0000000030DC: E05C1000 8086402A
	buffer_load_dwordx4 a[68:71], v42, s[24:27], 0 offen offset:1024// 0000000030E4: E05C1400 8086442A
	buffer_load_dwordx4 a[72:75], v43, s[24:27], 0 offen       // 0000000030EC: E05C1000 8086482B
	buffer_load_dwordx4 a[76:79], v43, s[24:27], 0 offen offset:1024// 0000000030F4: E05C1400 80864C2B
	s_add_u32 s24, s58, s24                                    // 0000000030FC: 8018183A
	s_addc_u32 s25, 0, s25                                     // 000000003100: 82191980
	s_waitcnt vmcnt(15)                                        // 000000003104: BF8C0F7F
	s_barrier                                                  // 000000003108: BF8A0000
	ds_read_b128 a[0:3], v2                                    // 00000000310C: DBFE0000 00000002
	ds_read_b128 a[4:7], v2 offset:64                          // 000000003114: DBFE0040 04000002
	ds_read_b128 a[8:11], v2 offset:512                        // 00000000311C: DBFE0200 08000002
	ds_read_b128 a[12:15], v2 offset:576                       // 000000003124: DBFE0240 0C000002
	ds_read_b128 a[16:19], v2 offset:1024                      // 00000000312C: DBFE0400 10000002
	ds_read_b128 a[20:23], v2 offset:1088                      // 000000003134: DBFE0440 14000002
	ds_read_b128 a[24:27], v2 offset:1536                      // 00000000313C: DBFE0600 18000002
	ds_read_b128 a[28:31], v2 offset:1600                      // 000000003144: DBFE0640 1C000002
	s_cmp_lt_i32 s7, 2                                         // 00000000314C: BF048207
	s_cbranch_scc0 label_09C9                                  // 000000003150: BF8407B1

0000000000003154 <label_0215>:
	s_waitcnt vmcnt(2) lgkmcnt(0)                              // 000000003154: BF8C0072
	s_barrier                                                  // 000000003158: BF8A0000
	v_mov_b32_e32 v36, v28                                     // 00000000315C: 7E48031C
	v_mov_b32_e32 v37, v29                                     // 000000003160: 7E4A031D
	v_mov_b32_e32 v38, v30                                     // 000000003164: 7E4C031E
	v_mov_b32_e32 v39, v31                                     // 000000003168: 7E4E031F
	v_mul_f32_dpp v4, v20, v36 row_newbcast:0 row_mask:0xf bank_mask:0xf// 00000000316C: 0A0848FA FF015014
	v_mfma_f32_16x16x128_f8f6f4 v[8:11], a[64:71], a[0:7], 0   // 000000003174: D3AD0008 1A020140
	buffer_load_dword v23, v19, s[32:35], 0 offen              // 00000000317C: E0501000 80081713
	v_mul_f32_dpp v6, v20, v37 row_newbcast:0 row_mask:0xf bank_mask:0xf// 000000003184: 0A0C4AFA FF015014
	v_mfma_f32_16x16x128_f8f6f4 v[12:15], a[64:71], a[8:15], 0 // 00000000318C: D3AD000C 1A021140
	buffer_load_dwordx4 a[80:83], v42, s[76:79], 0 offen       // 000000003194: E05C1000 8093502A
	s_nop 5                                                    // 00000000319C: BF800005
	v_fma_f32 v48, v8, v4, v48                                 // 0000000031A0: D1CB0030 04C20908
	v_fma_f32 v49, v9, v4, v49                                 // 0000000031A8: D1CB0031 04C60909
	v_fma_f32 v50, v10, v4, v50                                // 0000000031B0: D1CB0032 04CA090A
	v_fma_f32 v51, v11, v4, v51                                // 0000000031B8: D1CB0033 04CE090B
	v_mul_f32_dpp v4, v20, v38 row_newbcast:0 row_mask:0xf bank_mask:0xf// 0000000031C0: 0A084CFA FF015014
	v_mfma_f32_16x16x128_f8f6f4 v[8:11], a[64:71], a[16:23], 0 // 0000000031C8: D3AD0008 1A022140
	s_nop 5                                                    // 0000000031D0: BF800005
	v_fma_f32 v52, v12, v6, v52                                // 0000000031D4: D1CB0034 04D20D0C
	v_fma_f32 v53, v13, v6, v53                                // 0000000031DC: D1CB0035 04D60D0D
	v_fma_f32 v54, v14, v6, v54                                // 0000000031E4: D1CB0036 04DA0D0E
	v_fma_f32 v55, v15, v6, v55                                // 0000000031EC: D1CB0037 04DE0D0F
	v_mul_f32_dpp v6, v20, v39 row_newbcast:0 row_mask:0xf bank_mask:0xf// 0000000031F4: 0A0C4EFA FF015014
	v_mfma_f32_16x16x128_f8f6f4 v[12:15], a[64:71], a[24:31], 0// 0000000031FC: D3AD000C 1A023140
	buffer_load_dwordx4 a[84:87], v42, s[76:79], 0 offen offset:1024// 000000003204: E05C1400 8093542A
	s_nop 5                                                    // 00000000320C: BF800005
	v_fma_f32 v56, v8, v4, v56                                 // 000000003210: D1CB0038 04E20908
	v_fma_f32 v57, v9, v4, v57                                 // 000000003218: D1CB0039 04E60909
	v_fma_f32 v58, v10, v4, v58                                // 000000003220: D1CB003A 04EA090A
	v_fma_f32 v59, v11, v4, v59                                // 000000003228: D1CB003B 04EE090B
	s_waitcnt vmcnt(3)                                         // 000000003230: BF8C0F73
	v_mul_f32_dpp v4, v20, v36 row_newbcast:0 row_mask:0xf bank_mask:0xf// 000000003234: 0A0848FA FF015014
	v_mfma_f32_16x16x128_f8f6f4 v[8:11], a[72:79], a[0:7], 0   // 00000000323C: D3AD0008 1A020148
	s_nop 5                                                    // 000000003244: BF800005
	v_fma_f32 v60, v12, v6, v60                                // 000000003248: D1CB003C 04F20D0C
	v_fma_f32 v61, v13, v6, v61                                // 000000003250: D1CB003D 04F60D0D
	v_fma_f32 v62, v14, v6, v62                                // 000000003258: D1CB003E 04FA0D0E
	v_fma_f32 v63, v15, v6, v63                                // 000000003260: D1CB003F 04FE0D0F
	v_mul_f32_dpp v6, v20, v37 row_newbcast:0 row_mask:0xf bank_mask:0xf// 000000003268: 0A0C4AFA FF015014
	v_mfma_f32_16x16x128_f8f6f4 v[12:15], a[72:79], a[8:15], 0 // 000000003270: D3AD000C 1A021148
	buffer_load_dwordx4 a[88:91], v43, s[76:79], 0 offen       // 000000003278: E05C1000 8093582B
	s_nop 5                                                    // 000000003280: BF800005
	v_fma_f32 v64, v8, v4, v64                                 // 000000003284: D1CB0040 05020908
	v_fma_f32 v65, v9, v4, v65                                 // 00000000328C: D1CB0041 05060909
	v_fma_f32 v66, v10, v4, v66                                // 000000003294: D1CB0042 050A090A
	v_fma_f32 v67, v11, v4, v67                                // 00000000329C: D1CB0043 050E090B
	v_mul_f32_dpp v4, v20, v38 row_newbcast:0 row_mask:0xf bank_mask:0xf// 0000000032A4: 0A084CFA FF015014
	v_mfma_f32_16x16x128_f8f6f4 v[8:11], a[72:79], a[16:23], 0 // 0000000032AC: D3AD0008 1A022148
	s_add_u32 s52, 0x80, s70                                   // 0000000032B4: 803446FF 00000080
	s_cmp_lt_u32 s52, s71                                      // 0000000032BC: BF0A4734
	s_cselect_b32 s73, s73, 0                                  // 0000000032C0: 85498049
	s_cselect_b32 s4, s4, 0                                    // 0000000032C4: 85048004
	s_nop 5                                                    // 0000000032C8: BF800005
	v_fma_f32 v68, v12, v6, v68                                // 0000000032CC: D1CB0044 05120D0C
	v_fma_f32 v69, v13, v6, v69                                // 0000000032D4: D1CB0045 05160D0D
	v_fma_f32 v70, v14, v6, v70                                // 0000000032DC: D1CB0046 051A0D0E
	v_fma_f32 v71, v15, v6, v71                                // 0000000032E4: D1CB0047 051E0D0F
	v_mul_f32_dpp v6, v20, v39 row_newbcast:0 row_mask:0xf bank_mask:0xf// 0000000032EC: 0A0C4EFA FF015014
	v_mfma_f32_16x16x128_f8f6f4 v[12:15], a[72:79], a[24:31], 0// 0000000032F4: D3AD000C 1A023148
	buffer_load_dwordx4 a[92:95], v43, s[76:79], 0 offen offset:1024// 0000000032FC: E05C1400 80935C2B
	s_add_u32 s32, s4, s32                                     // 000000003304: 80202004
	s_addc_u32 s33, 0, s33                                     // 000000003308: 82212180
	s_nop 5                                                    // 00000000330C: BF800005
	v_fma_f32 v72, v8, v4, v72                                 // 000000003310: D1CB0048 05220908
	v_fma_f32 v73, v9, v4, v73                                 // 000000003318: D1CB0049 05260909
	v_fma_f32 v74, v10, v4, v74                                // 000000003320: D1CB004A 052A090A
	v_fma_f32 v75, v11, v4, v75                                // 000000003328: D1CB004B 052E090B
	s_nop 5                                                    // 000000003330: BF800005
	v_fma_f32 v76, v12, v6, v76                                // 000000003334: D1CB004C 05320D0C
	v_fma_f32 v77, v13, v6, v77                                // 00000000333C: D1CB004D 05360D0D
	v_fma_f32 v78, v14, v6, v78                                // 000000003344: D1CB004E 053A0D0E
	v_fma_f32 v79, v15, v6, v79                                // 00000000334C: D1CB004F 053E0D0F
	buffer_load_dwordx4 v40, s[20:23], 0 offen lds             // 000000003354: E05D1000 80050028
	s_add_u32 m0, 0x400, s46                                   // 00000000335C: 807C2EFF 00000400
	buffer_load_dwordx4 v41, s[20:23], 0 offen lds             // 000000003364: E05D1000 80050029
	s_add_u32 m0, 0, s47                                       // 00000000336C: 807C2F80
	buffer_load_dword v28, v24, s[28:31], 0 offen              // 000000003370: E0501000 80071C18
	buffer_load_dword v29, v25, s[28:31], 0 offen              // 000000003378: E0501000 80071D19
	buffer_load_dword v30, v26, s[28:31], 0 offen              // 000000003380: E0501000 80071E1A
	buffer_load_dword v31, v27, s[28:31], 0 offen              // 000000003388: E0501000 80071F1B
	s_waitcnt vmcnt(6)                                         // 000000003390: BF8C0F76
	v_mul_f32_dpp v4, v23, v36 row_newbcast:0 row_mask:0xf bank_mask:0xf// 000000003394: 0A0848FA FF015017
	v_mfma_f32_16x16x128_f8f6f4 v[8:11], a[80:87], a[0:7], 0   // 00000000339C: D3AD0008 1A020150
	buffer_load_dword v20, v18, s[32:35], 0 offen              // 0000000033A4: E0501000 80081412
	ds_read_b128 a[32:35], v2 offset:8320                      // 0000000033AC: DBFE2080 20000002
	ds_read_b128 a[36:39], v2 offset:8384                      // 0000000033B4: DBFE20C0 24000002
	v_mfma_f32_16x16x128_f8f6f4 v[12:15], a[88:95], a[0:7], 0  // 0000000033BC: D3AD000C 1A020158
	buffer_load_dwordx4 a[64:67], v42, s[24:27], 0 offen       // 0000000033C4: E05C1000 8086402A
	s_nop 5                                                    // 0000000033CC: BF800005
	v_fma_f32 v80, v8, v4, v80                                 // 0000000033D0: D1CB0050 05420908
	v_fma_f32 v81, v9, v4, v81                                 // 0000000033D8: D1CB0051 05460909
	v_fma_f32 v82, v10, v4, v82                                // 0000000033E0: D1CB0052 054A090A
	v_fma_f32 v83, v11, v4, v83                                // 0000000033E8: D1CB0053 054E090B
	v_mul_f32_dpp v6, v23, v37 row_newbcast:0 row_mask:0xf bank_mask:0xf// 0000000033F0: 0A0C4AFA FF015017
	v_mfma_f32_16x16x128_f8f6f4 v[8:11], a[80:87], a[8:15], 0  // 0000000033F8: D3AD0008 1A021150
	ds_read_b128 a[40:43], v2 offset:8832                      // 000000003400: DBFE2280 28000002
	ds_read_b128 a[44:47], v2 offset:8896                      // 000000003408: DBFE22C0 2C000002
	s_nop 5                                                    // 000000003410: BF800005
	v_fma_f32 v96, v12, v4, v96                                // 000000003414: D1CB0060 0582090C
	v_fma_f32 v97, v13, v4, v97                                // 00000000341C: D1CB0061 0586090D
	v_fma_f32 v98, v14, v4, v98                                // 000000003424: D1CB0062 058A090E
	v_fma_f32 v99, v15, v4, v99                                // 00000000342C: D1CB0063 058E090F
	v_mfma_f32_16x16x128_f8f6f4 v[12:15], a[88:95], a[8:15], 0 // 000000003434: D3AD000C 1A021158
	buffer_load_dwordx4 a[68:71], v42, s[24:27], 0 offen offset:1024// 00000000343C: E05C1400 8086442A
	s_add_u32 s52, 0x100, s70                                  // 000000003444: 803446FF 00000100
	s_cmp_lt_u32 s52, s71                                      // 00000000344C: BF0A4734
	s_cselect_b32 s58, s58, 0                                  // 000000003450: 853A803A
	s_nop 5                                                    // 000000003454: BF800005
	v_fma_f32 v84, v8, v6, v84                                 // 000000003458: D1CB0054 05520D08
	v_fma_f32 v85, v9, v6, v85                                 // 000000003460: D1CB0055 05560D09
	v_fma_f32 v86, v10, v6, v86                                // 000000003468: D1CB0056 055A0D0A
	v_fma_f32 v87, v11, v6, v87                                // 000000003470: D1CB0057 055E0D0B
	v_mul_f32_dpp v4, v23, v38 row_newbcast:0 row_mask:0xf bank_mask:0xf// 000000003478: 0A084CFA FF015017
	v_mfma_f32_16x16x128_f8f6f4 v[8:11], a[80:87], a[16:23], 0 // 000000003480: D3AD0008 1A022150
	ds_read_b128 a[48:51], v2 offset:9344                      // 000000003488: DBFE2480 30000002
	ds_read_b128 a[52:55], v2 offset:9408                      // 000000003490: DBFE24C0 34000002
	s_add_u32 s76, s73, s24                                    // 000000003498: 804C1849
	s_addc_u32 s77, 0, s77                                     // 00000000349C: 824D4D80
	s_nop 5                                                    // 0000000034A0: BF800005
	v_fma_f32 v100, v12, v6, v100                              // 0000000034A4: D1CB0064 05920D0C
	v_fma_f32 v101, v13, v6, v101                              // 0000000034AC: D1CB0065 05960D0D
	v_fma_f32 v102, v14, v6, v102                              // 0000000034B4: D1CB0066 059A0D0E
	v_fma_f32 v103, v15, v6, v103                              // 0000000034BC: D1CB0067 059E0D0F
	v_mfma_f32_16x16x128_f8f6f4 v[12:15], a[88:95], a[16:23], 0// 0000000034C4: D3AD000C 1A022158
	buffer_load_dwordx4 a[72:75], v43, s[24:27], 0 offen       // 0000000034CC: E05C1000 8086482B
	s_add_u32 s52, 0x180, s70                                  // 0000000034D4: 803446FF 00000180
	s_cmp_lt_u32 s52, s71                                      // 0000000034DC: BF0A4734
	s_cselect_b32 s57, s57, 0                                  // 0000000034E0: 85398039
	s_cselect_b32 s6, s6, 0                                    // 0000000034E4: 85068006
	s_nop 5                                                    // 0000000034E8: BF800005
	v_fma_f32 v88, v8, v4, v88                                 // 0000000034EC: D1CB0058 05620908
	v_fma_f32 v89, v9, v4, v89                                 // 0000000034F4: D1CB0059 05660909
	v_fma_f32 v90, v10, v4, v90                                // 0000000034FC: D1CB005A 056A090A
	v_fma_f32 v91, v11, v4, v91                                // 000000003504: D1CB005B 056E090B
	v_mul_f32_dpp v6, v23, v39 row_newbcast:0 row_mask:0xf bank_mask:0xf// 00000000350C: 0A0C4EFA FF015017
	v_mfma_f32_16x16x128_f8f6f4 v[8:11], a[80:87], a[24:31], 0 // 000000003514: D3AD0008 1A023150
	ds_read_b128 a[56:59], v2 offset:9856                      // 00000000351C: DBFE2680 38000002
	ds_read_b128 a[60:63], v2 offset:9920                      // 000000003524: DBFE26C0 3C000002
	s_add_u32 s20, s57, s20                                    // 00000000352C: 80141439
	s_addc_u32 s21, 0, s21                                     // 000000003530: 82151580
	s_add_u32 s28, s6, s28                                     // 000000003534: 801C1C06
	s_addc_u32 s29, 0, s29                                     // 000000003538: 821D1D80
	s_nop 5                                                    // 00000000353C: BF800005
	v_fma_f32 v104, v12, v4, v104                              // 000000003540: D1CB0068 05A2090C
	v_fma_f32 v105, v13, v4, v105                              // 000000003548: D1CB0069 05A6090D
	v_fma_f32 v106, v14, v4, v106                              // 000000003550: D1CB006A 05AA090E
	v_fma_f32 v107, v15, v4, v107                              // 000000003558: D1CB006B 05AE090F
	v_mfma_f32_16x16x128_f8f6f4 v[12:15], a[88:95], a[24:31], 0// 000000003560: D3AD000C 1A023158
	buffer_load_dwordx4 a[76:79], v43, s[24:27], 0 offen offset:1024// 000000003568: E05C1400 80864C2B
	s_add_u32 s24, s58, s24                                    // 000000003570: 8018183A
	s_addc_u32 s25, 0, s25                                     // 000000003574: 82191980
	s_nop 5                                                    // 000000003578: BF800005
	v_fma_f32 v92, v8, v6, v92                                 // 00000000357C: D1CB005C 05720D08
	v_fma_f32 v93, v9, v6, v93                                 // 000000003584: D1CB005D 05760D09
	v_fma_f32 v94, v10, v6, v94                                // 00000000358C: D1CB005E 057A0D0A
	v_fma_f32 v95, v11, v6, v95                                // 000000003594: D1CB005F 057E0D0B
	s_nop 5                                                    // 00000000359C: BF800005
	v_fma_f32 v108, v12, v6, v108                              // 0000000035A0: D1CB006C 05B20D0C
	v_fma_f32 v109, v13, v6, v109                              // 0000000035A8: D1CB006D 05B60D0D
	v_fma_f32 v110, v14, v6, v110                              // 0000000035B0: D1CB006E 05BA0D0E
	v_fma_f32 v111, v15, v6, v111                              // 0000000035B8: D1CB006F 05BE0D0F
	s_addk_i32 s70, 0x80                                       // 0000000035C0: B7460080
	s_cmp_lt_i32 s70, s71                                      // 0000000035C4: BF044746
	s_cbranch_scc0 label_0452                                  // 0000000035C8: BF84011F
	s_waitcnt vmcnt(2) lgkmcnt(0)                              // 0000000035CC: BF8C0072
	s_barrier                                                  // 0000000035D0: BF8A0000
	v_mov_b32_e32 v36, v32                                     // 0000000035D4: 7E480320
	v_mov_b32_e32 v37, v33                                     // 0000000035D8: 7E4A0321
	v_mov_b32_e32 v38, v34                                     // 0000000035DC: 7E4C0322
	v_mov_b32_e32 v39, v35                                     // 0000000035E0: 7E4E0323
	v_mul_f32_dpp v4, v20, v36 row_newbcast:0 row_mask:0xf bank_mask:0xf// 0000000035E4: 0A0848FA FF015014
	v_mfma_f32_16x16x128_f8f6f4 v[8:11], a[64:71], a[32:39], 0 // 0000000035EC: D3AD0008 1A024140
	buffer_load_dword v23, v19, s[32:35], 0 offen              // 0000000035F4: E0501000 80081713
	v_mul_f32_dpp v6, v20, v37 row_newbcast:0 row_mask:0xf bank_mask:0xf// 0000000035FC: 0A0C4AFA FF015014
	v_mfma_f32_16x16x128_f8f6f4 v[12:15], a[64:71], a[40:47], 0// 000000003604: D3AD000C 1A025140
	buffer_load_dwordx4 a[80:83], v42, s[76:79], 0 offen       // 00000000360C: E05C1000 8093502A
	s_nop 5                                                    // 000000003614: BF800005
	v_fma_f32 v48, v8, v4, v48                                 // 000000003618: D1CB0030 04C20908
	v_fma_f32 v49, v9, v4, v49                                 // 000000003620: D1CB0031 04C60909
	v_fma_f32 v50, v10, v4, v50                                // 000000003628: D1CB0032 04CA090A
	v_fma_f32 v51, v11, v4, v51                                // 000000003630: D1CB0033 04CE090B
	v_mul_f32_dpp v4, v20, v38 row_newbcast:0 row_mask:0xf bank_mask:0xf// 000000003638: 0A084CFA FF015014
	v_mfma_f32_16x16x128_f8f6f4 v[8:11], a[64:71], a[48:55], 0 // 000000003640: D3AD0008 1A026140
	s_nop 5                                                    // 000000003648: BF800005
	v_fma_f32 v52, v12, v6, v52                                // 00000000364C: D1CB0034 04D20D0C
	v_fma_f32 v53, v13, v6, v53                                // 000000003654: D1CB0035 04D60D0D
	v_fma_f32 v54, v14, v6, v54                                // 00000000365C: D1CB0036 04DA0D0E
	v_fma_f32 v55, v15, v6, v55                                // 000000003664: D1CB0037 04DE0D0F
	v_mul_f32_dpp v6, v20, v39 row_newbcast:0 row_mask:0xf bank_mask:0xf// 00000000366C: 0A0C4EFA FF015014
	v_mfma_f32_16x16x128_f8f6f4 v[12:15], a[64:71], a[56:63], 0// 000000003674: D3AD000C 1A027140
	buffer_load_dwordx4 a[84:87], v42, s[76:79], 0 offen offset:1024// 00000000367C: E05C1400 8093542A
	s_nop 5                                                    // 000000003684: BF800005
	v_fma_f32 v56, v8, v4, v56                                 // 000000003688: D1CB0038 04E20908
	v_fma_f32 v57, v9, v4, v57                                 // 000000003690: D1CB0039 04E60909
	v_fma_f32 v58, v10, v4, v58                                // 000000003698: D1CB003A 04EA090A
	v_fma_f32 v59, v11, v4, v59                                // 0000000036A0: D1CB003B 04EE090B
	s_waitcnt vmcnt(3)                                         // 0000000036A8: BF8C0F73
	v_mul_f32_dpp v4, v20, v36 row_newbcast:0 row_mask:0xf bank_mask:0xf// 0000000036AC: 0A0848FA FF015014
	v_mfma_f32_16x16x128_f8f6f4 v[8:11], a[72:79], a[32:39], 0 // 0000000036B4: D3AD0008 1A024148
	s_nop 5                                                    // 0000000036BC: BF800005
	v_fma_f32 v60, v12, v6, v60                                // 0000000036C0: D1CB003C 04F20D0C
	v_fma_f32 v61, v13, v6, v61                                // 0000000036C8: D1CB003D 04F60D0D
	v_fma_f32 v62, v14, v6, v62                                // 0000000036D0: D1CB003E 04FA0D0E
	v_fma_f32 v63, v15, v6, v63                                // 0000000036D8: D1CB003F 04FE0D0F
	v_mul_f32_dpp v6, v20, v37 row_newbcast:0 row_mask:0xf bank_mask:0xf// 0000000036E0: 0A0C4AFA FF015014
	v_mfma_f32_16x16x128_f8f6f4 v[12:15], a[72:79], a[40:47], 0// 0000000036E8: D3AD000C 1A025148
	buffer_load_dwordx4 a[88:91], v43, s[76:79], 0 offen       // 0000000036F0: E05C1000 8093582B
	s_nop 5                                                    // 0000000036F8: BF800005
	v_fma_f32 v64, v8, v4, v64                                 // 0000000036FC: D1CB0040 05020908
	v_fma_f32 v65, v9, v4, v65                                 // 000000003704: D1CB0041 05060909
	v_fma_f32 v66, v10, v4, v66                                // 00000000370C: D1CB0042 050A090A
	v_fma_f32 v67, v11, v4, v67                                // 000000003714: D1CB0043 050E090B
	v_mul_f32_dpp v4, v20, v38 row_newbcast:0 row_mask:0xf bank_mask:0xf// 00000000371C: 0A084CFA FF015014
	v_mfma_f32_16x16x128_f8f6f4 v[8:11], a[72:79], a[48:55], 0 // 000000003724: D3AD0008 1A026148
	s_add_u32 s52, 0x80, s70                                   // 00000000372C: 803446FF 00000080
	s_cmp_lt_u32 s52, s71                                      // 000000003734: BF0A4734
	s_cselect_b32 s73, s73, 0                                  // 000000003738: 85498049
	s_cselect_b32 s4, s4, 0                                    // 00000000373C: 85048004
	s_nop 5                                                    // 000000003740: BF800005
	v_fma_f32 v68, v12, v6, v68                                // 000000003744: D1CB0044 05120D0C
	v_fma_f32 v69, v13, v6, v69                                // 00000000374C: D1CB0045 05160D0D
	v_fma_f32 v70, v14, v6, v70                                // 000000003754: D1CB0046 051A0D0E
	v_fma_f32 v71, v15, v6, v71                                // 00000000375C: D1CB0047 051E0D0F
	v_mul_f32_dpp v6, v20, v39 row_newbcast:0 row_mask:0xf bank_mask:0xf// 000000003764: 0A0C4EFA FF015014
	v_mfma_f32_16x16x128_f8f6f4 v[12:15], a[72:79], a[56:63], 0// 00000000376C: D3AD000C 1A027148
	buffer_load_dwordx4 a[92:95], v43, s[76:79], 0 offen offset:1024// 000000003774: E05C1400 80935C2B
	s_add_u32 s32, s4, s32                                     // 00000000377C: 80202004
	s_addc_u32 s33, 0, s33                                     // 000000003780: 82212180
	s_nop 5                                                    // 000000003784: BF800005
	v_fma_f32 v72, v8, v4, v72                                 // 000000003788: D1CB0048 05220908
	v_fma_f32 v73, v9, v4, v73                                 // 000000003790: D1CB0049 05260909
	v_fma_f32 v74, v10, v4, v74                                // 000000003798: D1CB004A 052A090A
	v_fma_f32 v75, v11, v4, v75                                // 0000000037A0: D1CB004B 052E090B
	s_nop 5                                                    // 0000000037A8: BF800005
	v_fma_f32 v76, v12, v6, v76                                // 0000000037AC: D1CB004C 05320D0C
	v_fma_f32 v77, v13, v6, v77                                // 0000000037B4: D1CB004D 05360D0D
	v_fma_f32 v78, v14, v6, v78                                // 0000000037BC: D1CB004E 053A0D0E
	v_fma_f32 v79, v15, v6, v79                                // 0000000037C4: D1CB004F 053E0D0F
	buffer_load_dwordx4 v40, s[20:23], 0 offen lds             // 0000000037CC: E05D1000 80050028
	s_add_u32 m0, 0x400, s47                                   // 0000000037D4: 807C2FFF 00000400
	buffer_load_dwordx4 v41, s[20:23], 0 offen lds             // 0000000037DC: E05D1000 80050029
	s_add_u32 m0, 0, s46                                       // 0000000037E4: 807C2E80
	buffer_load_dword v32, v24, s[28:31], 0 offen              // 0000000037E8: E0501000 80072018
	buffer_load_dword v33, v25, s[28:31], 0 offen              // 0000000037F0: E0501000 80072119
	buffer_load_dword v34, v26, s[28:31], 0 offen              // 0000000037F8: E0501000 8007221A
	buffer_load_dword v35, v27, s[28:31], 0 offen              // 000000003800: E0501000 8007231B
	s_waitcnt vmcnt(6)                                         // 000000003808: BF8C0F76
	v_mul_f32_dpp v4, v23, v36 row_newbcast:0 row_mask:0xf bank_mask:0xf// 00000000380C: 0A0848FA FF015017
	v_mfma_f32_16x16x128_f8f6f4 v[8:11], a[80:87], a[32:39], 0 // 000000003814: D3AD0008 1A024150
	buffer_load_dword v20, v18, s[32:35], 0 offen              // 00000000381C: E0501000 80081412
	ds_read_b128 a[0:3], v2                                    // 000000003824: DBFE0000 00000002
	ds_read_b128 a[4:7], v2 offset:64                          // 00000000382C: DBFE0040 04000002
	v_mfma_f32_16x16x128_f8f6f4 v[12:15], a[88:95], a[32:39], 0// 000000003834: D3AD000C 1A024158
	buffer_load_dwordx4 a[64:67], v42, s[24:27], 0 offen       // 00000000383C: E05C1000 8086402A
	s_nop 5                                                    // 000000003844: BF800005
	v_fma_f32 v80, v8, v4, v80                                 // 000000003848: D1CB0050 05420908
	v_fma_f32 v81, v9, v4, v81                                 // 000000003850: D1CB0051 05460909
	v_fma_f32 v82, v10, v4, v82                                // 000000003858: D1CB0052 054A090A
	v_fma_f32 v83, v11, v4, v83                                // 000000003860: D1CB0053 054E090B
	v_mul_f32_dpp v6, v23, v37 row_newbcast:0 row_mask:0xf bank_mask:0xf// 000000003868: 0A0C4AFA FF015017
	v_mfma_f32_16x16x128_f8f6f4 v[8:11], a[80:87], a[40:47], 0 // 000000003870: D3AD0008 1A025150
	ds_read_b128 a[8:11], v2 offset:512                        // 000000003878: DBFE0200 08000002
	ds_read_b128 a[12:15], v2 offset:576                       // 000000003880: DBFE0240 0C000002
	s_nop 5                                                    // 000000003888: BF800005
	v_fma_f32 v96, v12, v4, v96                                // 00000000388C: D1CB0060 0582090C
	v_fma_f32 v97, v13, v4, v97                                // 000000003894: D1CB0061 0586090D
	v_fma_f32 v98, v14, v4, v98                                // 00000000389C: D1CB0062 058A090E
	v_fma_f32 v99, v15, v4, v99                                // 0000000038A4: D1CB0063 058E090F
	v_mfma_f32_16x16x128_f8f6f4 v[12:15], a[88:95], a[40:47], 0// 0000000038AC: D3AD000C 1A025158
	buffer_load_dwordx4 a[68:71], v42, s[24:27], 0 offen offset:1024// 0000000038B4: E05C1400 8086442A
	s_add_u32 s52, 0x100, s70                                  // 0000000038BC: 803446FF 00000100
	s_cmp_lt_u32 s52, s71                                      // 0000000038C4: BF0A4734
	s_cselect_b32 s58, s58, 0                                  // 0000000038C8: 853A803A
	s_nop 5                                                    // 0000000038CC: BF800005
	v_fma_f32 v84, v8, v6, v84                                 // 0000000038D0: D1CB0054 05520D08
	v_fma_f32 v85, v9, v6, v85                                 // 0000000038D8: D1CB0055 05560D09
	v_fma_f32 v86, v10, v6, v86                                // 0000000038E0: D1CB0056 055A0D0A
	v_fma_f32 v87, v11, v6, v87                                // 0000000038E8: D1CB0057 055E0D0B
	v_mul_f32_dpp v4, v23, v38 row_newbcast:0 row_mask:0xf bank_mask:0xf// 0000000038F0: 0A084CFA FF015017
	v_mfma_f32_16x16x128_f8f6f4 v[8:11], a[80:87], a[48:55], 0 // 0000000038F8: D3AD0008 1A026150
	ds_read_b128 a[16:19], v2 offset:1024                      // 000000003900: DBFE0400 10000002
	ds_read_b128 a[20:23], v2 offset:1088                      // 000000003908: DBFE0440 14000002
	s_add_u32 s76, s73, s24                                    // 000000003910: 804C1849
	s_addc_u32 s77, 0, s77                                     // 000000003914: 824D4D80
	s_nop 5                                                    // 000000003918: BF800005
	v_fma_f32 v100, v12, v6, v100                              // 00000000391C: D1CB0064 05920D0C
	v_fma_f32 v101, v13, v6, v101                              // 000000003924: D1CB0065 05960D0D
	v_fma_f32 v102, v14, v6, v102                              // 00000000392C: D1CB0066 059A0D0E
	v_fma_f32 v103, v15, v6, v103                              // 000000003934: D1CB0067 059E0D0F
	v_mfma_f32_16x16x128_f8f6f4 v[12:15], a[88:95], a[48:55], 0// 00000000393C: D3AD000C 1A026158
	buffer_load_dwordx4 a[72:75], v43, s[24:27], 0 offen       // 000000003944: E05C1000 8086482B
	s_add_u32 s52, 0x180, s70                                  // 00000000394C: 803446FF 00000180
	s_cmp_lt_u32 s52, s71                                      // 000000003954: BF0A4734
	s_cselect_b32 s57, s57, 0                                  // 000000003958: 85398039
	s_cselect_b32 s6, s6, 0                                    // 00000000395C: 85068006
	s_nop 5                                                    // 000000003960: BF800005
	v_fma_f32 v88, v8, v4, v88                                 // 000000003964: D1CB0058 05620908
	v_fma_f32 v89, v9, v4, v89                                 // 00000000396C: D1CB0059 05660909
	v_fma_f32 v90, v10, v4, v90                                // 000000003974: D1CB005A 056A090A
	v_fma_f32 v91, v11, v4, v91                                // 00000000397C: D1CB005B 056E090B
	v_mul_f32_dpp v6, v23, v39 row_newbcast:0 row_mask:0xf bank_mask:0xf// 000000003984: 0A0C4EFA FF015017
	v_mfma_f32_16x16x128_f8f6f4 v[8:11], a[80:87], a[56:63], 0 // 00000000398C: D3AD0008 1A027150
	ds_read_b128 a[24:27], v2 offset:1536                      // 000000003994: DBFE0600 18000002
	ds_read_b128 a[28:31], v2 offset:1600                      // 00000000399C: DBFE0640 1C000002
	s_add_u32 s20, s57, s20                                    // 0000000039A4: 80141439
	s_addc_u32 s21, 0, s21                                     // 0000000039A8: 82151580
	s_add_u32 s28, s6, s28                                     // 0000000039AC: 801C1C06
	s_addc_u32 s29, 0, s29                                     // 0000000039B0: 821D1D80
	s_nop 5                                                    // 0000000039B4: BF800005
	v_fma_f32 v104, v12, v4, v104                              // 0000000039B8: D1CB0068 05A2090C
	v_fma_f32 v105, v13, v4, v105                              // 0000000039C0: D1CB0069 05A6090D
	v_fma_f32 v106, v14, v4, v106                              // 0000000039C8: D1CB006A 05AA090E
	v_fma_f32 v107, v15, v4, v107                              // 0000000039D0: D1CB006B 05AE090F
	v_mfma_f32_16x16x128_f8f6f4 v[12:15], a[88:95], a[56:63], 0// 0000000039D8: D3AD000C 1A027158
	buffer_load_dwordx4 a[76:79], v43, s[24:27], 0 offen offset:1024// 0000000039E0: E05C1400 80864C2B
	s_add_u32 s24, s58, s24                                    // 0000000039E8: 8018183A
	s_addc_u32 s25, 0, s25                                     // 0000000039EC: 82191980
	s_nop 5                                                    // 0000000039F0: BF800005
	v_fma_f32 v92, v8, v6, v92                                 // 0000000039F4: D1CB005C 05720D08
	v_fma_f32 v93, v9, v6, v93                                 // 0000000039FC: D1CB005D 05760D09
	v_fma_f32 v94, v10, v6, v94                                // 000000003A04: D1CB005E 057A0D0A
	v_fma_f32 v95, v11, v6, v95                                // 000000003A0C: D1CB005F 057E0D0B
	s_nop 5                                                    // 000000003A14: BF800005
	v_fma_f32 v108, v12, v6, v108                              // 000000003A18: D1CB006C 05B20D0C
	v_fma_f32 v109, v13, v6, v109                              // 000000003A20: D1CB006D 05B60D0D
	v_fma_f32 v110, v14, v6, v110                              // 000000003A28: D1CB006E 05BA0D0E
	v_fma_f32 v111, v15, v6, v111                              // 000000003A30: D1CB006F 05BE0D0F
	s_addk_i32 s70, 0x80                                       // 000000003A38: B7460080
	s_cmp_lt_i32 s70, s71                                      // 000000003A3C: BF044746
	s_cbranch_scc0 label_0452                                  // 000000003A40: BF840001
	s_branch label_0215                                        // 000000003A44: BF82FDC3

0000000000003a48 <label_0452>:
	s_cmp_eq_u32 s74, 0                                        // 000000003A48: BF06804A
	s_cbranch_scc0 label_067C                                  // 000000003A4C: BF840228
	v_cvt_pk_bf16_f32 v48, v48, v49                            // 000000003A50: D2680030 00026330
	v_cvt_pk_bf16_f32 v49, v50, v51                            // 000000003A58: D2680031 00026732
	v_cvt_pk_bf16_f32 v50, v52, v53                            // 000000003A60: D2680032 00026B34
	v_cvt_pk_bf16_f32 v51, v54, v55                            // 000000003A68: D2680033 00026F36
	v_cvt_pk_bf16_f32 v52, v56, v57                            // 000000003A70: D2680034 00027338
	v_cvt_pk_bf16_f32 v53, v58, v59                            // 000000003A78: D2680035 0002773A
	v_cvt_pk_bf16_f32 v54, v60, v61                            // 000000003A80: D2680036 00027B3C
	v_cvt_pk_bf16_f32 v55, v62, v63                            // 000000003A88: D2680037 00027F3E
	v_cvt_pk_bf16_f32 v56, v64, v65                            // 000000003A90: D2680038 00028340
	v_cvt_pk_bf16_f32 v57, v66, v67                            // 000000003A98: D2680039 00028742
	v_cvt_pk_bf16_f32 v58, v68, v69                            // 000000003AA0: D268003A 00028B44
	v_cvt_pk_bf16_f32 v59, v70, v71                            // 000000003AA8: D268003B 00028F46
	v_cvt_pk_bf16_f32 v60, v72, v73                            // 000000003AB0: D268003C 00029348
	v_cvt_pk_bf16_f32 v61, v74, v75                            // 000000003AB8: D268003D 0002974A
	v_cvt_pk_bf16_f32 v62, v76, v77                            // 000000003AC0: D268003E 00029B4C
	v_cvt_pk_bf16_f32 v63, v78, v79                            // 000000003AC8: D268003F 00029F4E
	ds_write_b64 v16, v[48:49]                                 // 000000003AD0: D89A0000 00003010
	ds_write_b64 v16, v[50:51] offset:4352                     // 000000003AD8: D89A1100 00003210
	ds_write_b64 v16, v[52:53] offset:8704                     // 000000003AE0: D89A2200 00003410
	ds_write_b64 v16, v[54:55] offset:13056                    // 000000003AE8: D89A3300 00003610
	ds_write_b64 v16, v[56:57] offset:2176                     // 000000003AF0: D89A0880 00003810
	ds_write_b64 v16, v[58:59] offset:6528                     // 000000003AF8: D89A1980 00003A10
	ds_write_b64 v16, v[60:61] offset:10880                    // 000000003B00: D89A2A80 00003C10
	ds_write_b64 v16, v[62:63] offset:15232                    // 000000003B08: D89A3B80 00003E10
	v_cvt_pk_bf16_f32 v80, v80, v81                            // 000000003B10: D2680050 0002A350
	v_cvt_pk_bf16_f32 v81, v82, v83                            // 000000003B18: D2680051 0002A752
	v_cvt_pk_bf16_f32 v82, v84, v85                            // 000000003B20: D2680052 0002AB54
	v_cvt_pk_bf16_f32 v83, v86, v87                            // 000000003B28: D2680053 0002AF56
	v_cvt_pk_bf16_f32 v84, v88, v89                            // 000000003B30: D2680054 0002B358
	v_cvt_pk_bf16_f32 v85, v90, v91                            // 000000003B38: D2680055 0002B75A
	v_cvt_pk_bf16_f32 v86, v92, v93                            // 000000003B40: D2680056 0002BB5C
	v_cvt_pk_bf16_f32 v87, v94, v95                            // 000000003B48: D2680057 0002BF5E
	v_cvt_pk_bf16_f32 v88, v96, v97                            // 000000003B50: D2680058 0002C360
	v_cvt_pk_bf16_f32 v89, v98, v99                            // 000000003B58: D2680059 0002C762
	v_cvt_pk_bf16_f32 v90, v100, v101                          // 000000003B60: D268005A 0002CB64
	v_cvt_pk_bf16_f32 v91, v102, v103                          // 000000003B68: D268005B 0002CF66
	v_cvt_pk_bf16_f32 v92, v104, v105                          // 000000003B70: D268005C 0002D368
	v_cvt_pk_bf16_f32 v93, v106, v107                          // 000000003B78: D268005D 0002D76A
	v_cvt_pk_bf16_f32 v94, v108, v109                          // 000000003B80: D268005E 0002DB6C
	v_cvt_pk_bf16_f32 v95, v110, v111                          // 000000003B88: D268005F 0002DF6E
	v_lshrrev_b32_e32 v4, 5, v0                                // 000000003B90: 20080085
	v_xor_b32_e32 v5, 1, v4                                    // 000000003B94: 2A0A0881
	s_mul_i32 s52, s61, 2                                      // 000000003B98: 9234823D
	s_cmp_eq_u32 s74, 0                                        // 000000003B9C: BF06804A
	s_cselect_b32 s53, 1, 4                                    // 000000003BA0: 85358481
	s_mul_i32 s52, s53, s52                                    // 000000003BA4: 92343435
	v_readlane_b32 s72, v3, 0                                  // 000000003BA8: D2890048 00010103
	s_mul_i32 s72, s72, s66                                    // 000000003BB0: 92484248
	v_mul_lo_u32 v6, v5, s72                                   // 000000003BB4: D2850006 00009105
	v_readlane_b32 s72, v3, 1                                  // 000000003BBC: D2890048 00010303
	s_mul_i32 s72, s72, s66                                    // 000000003BC4: 92484248
	v_mul_lo_u32 v7, v4, s72                                   // 000000003BC8: D2850007 00009104
	v_add_u32_e32 v64, v6, v7                                  // 000000003BD0: 68800F06
	v_readlane_b32 s72, v3, 2                                  // 000000003BD4: D2890048 00010503
	s_mul_i32 s72, s72, s66                                    // 000000003BDC: 92484248
	v_mul_lo_u32 v6, v5, s72                                   // 000000003BE0: D2850006 00009105
	v_readlane_b32 s72, v3, 3                                  // 000000003BE8: D2890048 00010703
	s_mul_i32 s72, s72, s66                                    // 000000003BF0: 92484248
	v_mul_lo_u32 v7, v4, s72                                   // 000000003BF4: D2850007 00009104
	v_add_u32_e32 v65, v6, v7                                  // 000000003BFC: 68820F06
	v_readlane_b32 s72, v3, 4                                  // 000000003C00: D2890048 00010903
	s_mul_i32 s72, s72, s66                                    // 000000003C08: 92484248
	v_mul_lo_u32 v6, v5, s72                                   // 000000003C0C: D2850006 00009105
	v_readlane_b32 s72, v3, 5                                  // 000000003C14: D2890048 00010B03
	s_mul_i32 s72, s72, s66                                    // 000000003C1C: 92484248
	v_mul_lo_u32 v7, v4, s72                                   // 000000003C20: D2850007 00009104
	v_add_u32_e32 v66, v6, v7                                  // 000000003C28: 68840F06
	v_readlane_b32 s72, v3, 6                                  // 000000003C2C: D2890048 00010D03
	s_mul_i32 s72, s72, s66                                    // 000000003C34: 92484248
	v_mul_lo_u32 v6, v5, s72                                   // 000000003C38: D2850006 00009105
	v_readlane_b32 s72, v3, 7                                  // 000000003C40: D2890048 00010F03
	s_mul_i32 s72, s72, s66                                    // 000000003C48: 92484248
	v_mul_lo_u32 v7, v4, s72                                   // 000000003C4C: D2850007 00009104
	v_add_u32_e32 v67, v6, v7                                  // 000000003C54: 68860F06
	v_readlane_b32 s72, v3, 8                                  // 000000003C58: D2890048 00011103
	s_mul_i32 s72, s72, s66                                    // 000000003C60: 92484248
	v_mul_lo_u32 v6, v5, s72                                   // 000000003C64: D2850006 00009105
	v_readlane_b32 s72, v3, 9                                  // 000000003C6C: D2890048 00011303
	s_mul_i32 s72, s72, s66                                    // 000000003C74: 92484248
	v_mul_lo_u32 v7, v4, s72                                   // 000000003C78: D2850007 00009104
	v_add_u32_e32 v68, v6, v7                                  // 000000003C80: 68880F06
	v_readlane_b32 s72, v3, 10                                 // 000000003C84: D2890048 00011503
	s_mul_i32 s72, s72, s66                                    // 000000003C8C: 92484248
	v_mul_lo_u32 v6, v5, s72                                   // 000000003C90: D2850006 00009105
	v_readlane_b32 s72, v3, 11                                 // 000000003C98: D2890048 00011703
	s_mul_i32 s72, s72, s66                                    // 000000003CA0: 92484248
	v_mul_lo_u32 v7, v4, s72                                   // 000000003CA4: D2850007 00009104
	v_add_u32_e32 v69, v6, v7                                  // 000000003CAC: 688A0F06
	v_readlane_b32 s72, v3, 12                                 // 000000003CB0: D2890048 00011903
	s_mul_i32 s72, s72, s66                                    // 000000003CB8: 92484248
	v_mul_lo_u32 v6, v5, s72                                   // 000000003CBC: D2850006 00009105
	v_readlane_b32 s72, v3, 13                                 // 000000003CC4: D2890048 00011B03
	s_mul_i32 s72, s72, s66                                    // 000000003CCC: 92484248
	v_mul_lo_u32 v7, v4, s72                                   // 000000003CD0: D2850007 00009104
	v_add_u32_e32 v70, v6, v7                                  // 000000003CD8: 688C0F06
	v_readlane_b32 s72, v3, 14                                 // 000000003CDC: D2890048 00011D03
	s_mul_i32 s72, s72, s66                                    // 000000003CE4: 92484248
	v_mul_lo_u32 v6, v5, s72                                   // 000000003CE8: D2850006 00009105
	v_readlane_b32 s72, v3, 15                                 // 000000003CF0: D2890048 00011F03
	s_mul_i32 s72, s72, s66                                    // 000000003CF8: 92484248
	v_mul_lo_u32 v7, v4, s72                                   // 000000003CFC: D2850007 00009104
	v_add_u32_e32 v71, v6, v7                                  // 000000003D04: 688E0F06
	v_and_b32_e32 v4, 31, v0                                   // 000000003D08: 2608009F
	v_lshrrev_b32_e32 v4, 1, v4                                // 000000003D0C: 20080881
	s_cmp_eq_u32 s74, 0                                        // 000000003D10: BF06804A
	s_cselect_b32 s53, 2, 4                                    // 000000003D14: 85358482
	v_mul_lo_u32 v4, v4, s53                                   // 000000003D18: D2850004 00006B04
	v_and_b32_e64 v5, v0, 1                                    // 000000003D20: D1130005 00010300
	v_add_u32_e32 v4, v4, v5                                   // 000000003D28: 68080B04
	v_lshlrev_b32_e32 v4, 2, v4                                // 000000003D2C: 24080882
	v_add_u32_e32 v64, v64, v4                                 // 000000003D30: 68800940
	v_add_u32_e32 v65, v65, v4                                 // 000000003D34: 68820941
	v_add_u32_e32 v66, v66, v4                                 // 000000003D38: 68840942
	v_add_u32_e32 v67, v67, v4                                 // 000000003D3C: 68860943
	v_add_u32_e32 v68, v68, v4                                 // 000000003D40: 68880944
	v_add_u32_e32 v69, v69, v4                                 // 000000003D44: 688A0945
	v_add_u32_e32 v70, v70, v4                                 // 000000003D48: 688C0946
	v_add_u32_e32 v71, v71, v4                                 // 000000003D4C: 688E0947
	s_waitcnt lgkmcnt(0)                                       // 000000003D50: BF8CC07F
	s_barrier                                                  // 000000003D54: BF8A0000
	ds_read_b32 v48, v17                                       // 000000003D58: D86C0000 30000011
	ds_read_b32 v49, v17 offset:64                             // 000000003D60: D86C0040 31000011
	ds_read_b32 v50, v17 offset:2176                           // 000000003D68: D86C0880 32000011
	ds_read_b32 v51, v17 offset:2240                           // 000000003D70: D86C08C0 33000011
	ds_read_b32 v52, v17 offset:4352                           // 000000003D78: D86C1100 34000011
	ds_read_b32 v53, v17 offset:4416                           // 000000003D80: D86C1140 35000011
	ds_read_b32 v54, v17 offset:6528                           // 000000003D88: D86C1980 36000011
	ds_read_b32 v55, v17 offset:6592                           // 000000003D90: D86C19C0 37000011
	ds_read_b32 v56, v17 offset:8704                           // 000000003D98: D86C2200 38000011
	ds_read_b32 v57, v17 offset:8768                           // 000000003DA0: D86C2240 39000011
	ds_read_b32 v58, v17 offset:10880                          // 000000003DA8: D86C2A80 3A000011
	ds_read_b32 v59, v17 offset:10944                          // 000000003DB0: D86C2AC0 3B000011
	ds_read_b32 v60, v17 offset:13056                          // 000000003DB8: D86C3300 3C000011
	ds_read_b32 v61, v17 offset:13120                          // 000000003DC0: D86C3340 3D000011
	ds_read_b32 v62, v17 offset:15232                          // 000000003DC8: D86C3B80 3E000011
	ds_read_b32 v63, v17 offset:15296                          // 000000003DD0: D86C3BC0 3F000011
	s_waitcnt lgkmcnt(0)                                       // 000000003DD8: BF8CC07F
	s_mov_b32 s16, -1                                          // 000000003DDC: BE9000C1
	s_mov_b32 s17, -1                                          // 000000003DE0: BE9100C1
	v_mov_b32_e32 v7, 0                                        // 000000003DE4: 7E0E0280
	s_or_b32 s9, s9, 0x40000                                   // 000000003DE8: 8709FF09 00040000
	s_mov_b64 exec, s[16:17]                                   // 000000003DF0: BEFE0110
	v_mov_b32_e32 v6, v64                                      // 000000003DF4: 7E0C0340
	s_mov_b64 s[52:53], 0                                      // 000000003DF8: BEB40180
	v_readlane_b32 s72, v3, 0                                  // 000000003DFC: D2890048 00010103
	s_cmp_lt_u32 s72, s62                                      // 000000003E04: BF0A3E48
	s_cselect_b32 s20, s16, s52                                // 000000003E08: 85143410
	v_readlane_b32 s72, v3, 1                                  // 000000003E0C: D2890048 00010303
	s_cmp_lt_u32 s72, s62                                      // 000000003E14: BF0A3E48
	s_cselect_b32 s21, s16, s52                                // 000000003E18: 85153410
	s_mov_b64 exec, s[20:21]                                   // 000000003E1C: BEFE0114
	buffer_store_dword v48, v6, s[8:11], 0 offen               // 000000003E20: E0701000 80023006
	buffer_store_dword v50, v6, s[8:11], 0 offen offset:128    // 000000003E28: E0701080 80023206
	s_mov_b64 exec, s[16:17]                                   // 000000003E30: BEFE0110
	v_mov_b32_e32 v6, v65                                      // 000000003E34: 7E0C0341
	s_mov_b64 s[52:53], 0                                      // 000000003E38: BEB40180
	v_readlane_b32 s72, v3, 2                                  // 000000003E3C: D2890048 00010503
	s_cmp_lt_u32 s72, s62                                      // 000000003E44: BF0A3E48
	s_cselect_b32 s20, s16, s52                                // 000000003E48: 85143410
	v_readlane_b32 s72, v3, 3                                  // 000000003E4C: D2890048 00010703
	s_cmp_lt_u32 s72, s62                                      // 000000003E54: BF0A3E48
	s_cselect_b32 s21, s16, s52                                // 000000003E58: 85153410
	s_mov_b64 exec, s[20:21]                                   // 000000003E5C: BEFE0114
	buffer_store_dword v49, v6, s[8:11], 0 offen               // 000000003E60: E0701000 80023106
	buffer_store_dword v51, v6, s[8:11], 0 offen offset:128    // 000000003E68: E0701080 80023306
	s_mov_b64 exec, s[16:17]                                   // 000000003E70: BEFE0110
	v_mov_b32_e32 v6, v66                                      // 000000003E74: 7E0C0342
	s_mov_b64 s[52:53], 0                                      // 000000003E78: BEB40180
	v_readlane_b32 s72, v3, 4                                  // 000000003E7C: D2890048 00010903
	s_cmp_lt_u32 s72, s62                                      // 000000003E84: BF0A3E48
	s_cselect_b32 s20, s16, s52                                // 000000003E88: 85143410
	v_readlane_b32 s72, v3, 5                                  // 000000003E8C: D2890048 00010B03
	s_cmp_lt_u32 s72, s62                                      // 000000003E94: BF0A3E48
	s_cselect_b32 s21, s16, s52                                // 000000003E98: 85153410
	s_mov_b64 exec, s[20:21]                                   // 000000003E9C: BEFE0114
	buffer_store_dword v52, v6, s[8:11], 0 offen               // 000000003EA0: E0701000 80023406
	buffer_store_dword v54, v6, s[8:11], 0 offen offset:128    // 000000003EA8: E0701080 80023606
	s_mov_b64 exec, s[16:17]                                   // 000000003EB0: BEFE0110
	v_mov_b32_e32 v6, v67                                      // 000000003EB4: 7E0C0343
	s_mov_b64 s[52:53], 0                                      // 000000003EB8: BEB40180
	v_readlane_b32 s72, v3, 6                                  // 000000003EBC: D2890048 00010D03
	s_cmp_lt_u32 s72, s62                                      // 000000003EC4: BF0A3E48
	s_cselect_b32 s20, s16, s52                                // 000000003EC8: 85143410
	v_readlane_b32 s72, v3, 7                                  // 000000003ECC: D2890048 00010F03
	s_cmp_lt_u32 s72, s62                                      // 000000003ED4: BF0A3E48
	s_cselect_b32 s21, s16, s52                                // 000000003ED8: 85153410
	s_mov_b64 exec, s[20:21]                                   // 000000003EDC: BEFE0114
	buffer_store_dword v53, v6, s[8:11], 0 offen               // 000000003EE0: E0701000 80023506
	buffer_store_dword v55, v6, s[8:11], 0 offen offset:128    // 000000003EE8: E0701080 80023706
	s_mov_b64 exec, s[16:17]                                   // 000000003EF0: BEFE0110
	v_mov_b32_e32 v6, v68                                      // 000000003EF4: 7E0C0344
	s_mov_b64 s[52:53], 0                                      // 000000003EF8: BEB40180
	v_readlane_b32 s72, v3, 8                                  // 000000003EFC: D2890048 00011103
	s_cmp_lt_u32 s72, s62                                      // 000000003F04: BF0A3E48
	s_cselect_b32 s20, s16, s52                                // 000000003F08: 85143410
	v_readlane_b32 s72, v3, 9                                  // 000000003F0C: D2890048 00011303
	s_cmp_lt_u32 s72, s62                                      // 000000003F14: BF0A3E48
	s_cselect_b32 s21, s16, s52                                // 000000003F18: 85153410
	s_mov_b64 exec, s[20:21]                                   // 000000003F1C: BEFE0114
	buffer_store_dword v56, v6, s[8:11], 0 offen               // 000000003F20: E0701000 80023806
	buffer_store_dword v58, v6, s[8:11], 0 offen offset:128    // 000000003F28: E0701080 80023A06
	s_mov_b64 exec, s[16:17]                                   // 000000003F30: BEFE0110
	v_mov_b32_e32 v6, v69                                      // 000000003F34: 7E0C0345
	s_mov_b64 s[52:53], 0                                      // 000000003F38: BEB40180
	v_readlane_b32 s72, v3, 10                                 // 000000003F3C: D2890048 00011503
	s_cmp_lt_u32 s72, s62                                      // 000000003F44: BF0A3E48
	s_cselect_b32 s20, s16, s52                                // 000000003F48: 85143410
	v_readlane_b32 s72, v3, 11                                 // 000000003F4C: D2890048 00011703
	s_cmp_lt_u32 s72, s62                                      // 000000003F54: BF0A3E48
	s_cselect_b32 s21, s16, s52                                // 000000003F58: 85153410
	s_mov_b64 exec, s[20:21]                                   // 000000003F5C: BEFE0114
	buffer_store_dword v57, v6, s[8:11], 0 offen               // 000000003F60: E0701000 80023906
	buffer_store_dword v59, v6, s[8:11], 0 offen offset:128    // 000000003F68: E0701080 80023B06
	s_mov_b64 exec, s[16:17]                                   // 000000003F70: BEFE0110
	v_mov_b32_e32 v6, v70                                      // 000000003F74: 7E0C0346
	s_mov_b64 s[52:53], 0                                      // 000000003F78: BEB40180
	v_readlane_b32 s72, v3, 12                                 // 000000003F7C: D2890048 00011903
	s_cmp_lt_u32 s72, s62                                      // 000000003F84: BF0A3E48
	s_cselect_b32 s20, s16, s52                                // 000000003F88: 85143410
	v_readlane_b32 s72, v3, 13                                 // 000000003F8C: D2890048 00011B03
	s_cmp_lt_u32 s72, s62                                      // 000000003F94: BF0A3E48
	s_cselect_b32 s21, s16, s52                                // 000000003F98: 85153410
	s_mov_b64 exec, s[20:21]                                   // 000000003F9C: BEFE0114
	buffer_store_dword v60, v6, s[8:11], 0 offen               // 000000003FA0: E0701000 80023C06
	buffer_store_dword v62, v6, s[8:11], 0 offen offset:128    // 000000003FA8: E0701080 80023E06
	s_mov_b64 exec, s[16:17]                                   // 000000003FB0: BEFE0110
	v_mov_b32_e32 v6, v71                                      // 000000003FB4: 7E0C0347
	s_mov_b64 s[52:53], 0                                      // 000000003FB8: BEB40180
	v_readlane_b32 s72, v3, 14                                 // 000000003FBC: D2890048 00011D03
	s_cmp_lt_u32 s72, s62                                      // 000000003FC4: BF0A3E48
	s_cselect_b32 s20, s16, s52                                // 000000003FC8: 85143410
	v_readlane_b32 s72, v3, 15                                 // 000000003FCC: D2890048 00011F03
	s_cmp_lt_u32 s72, s62                                      // 000000003FD4: BF0A3E48
	s_cselect_b32 s21, s16, s52                                // 000000003FD8: 85153410
	s_mov_b64 exec, s[20:21]                                   // 000000003FDC: BEFE0114
	buffer_store_dword v61, v6, s[8:11], 0 offen               // 000000003FE0: E0701000 80023D06
	buffer_store_dword v63, v6, s[8:11], 0 offen offset:128    // 000000003FE8: E0701080 80023F06
	s_mov_b64 exec, s[16:17]                                   // 000000003FF0: BEFE0110
	s_waitcnt lgkmcnt(0)                                       // 000000003FF4: BF8CC07F
	s_barrier                                                  // 000000003FF8: BF8A0000
	ds_write_b64 v16, v[80:81]                                 // 000000003FFC: D89A0000 00005010
	ds_write_b64 v16, v[82:83] offset:4352                     // 000000004004: D89A1100 00005210
	ds_write_b64 v16, v[84:85] offset:8704                     // 00000000400C: D89A2200 00005410
	ds_write_b64 v16, v[86:87] offset:13056                    // 000000004014: D89A3300 00005610
	ds_write_b64 v16, v[88:89] offset:2176                     // 00000000401C: D89A0880 00005810
	ds_write_b64 v16, v[90:91] offset:6528                     // 000000004024: D89A1980 00005A10
	ds_write_b64 v16, v[92:93] offset:10880                    // 00000000402C: D89A2A80 00005C10
	ds_write_b64 v16, v[94:95] offset:15232                    // 000000004034: D89A3B80 00005E10
	s_waitcnt lgkmcnt(0)                                       // 00000000403C: BF8CC07F
	s_barrier                                                  // 000000004040: BF8A0000
	ds_read_b32 v80, v17                                       // 000000004044: D86C0000 50000011
	ds_read_b32 v81, v17 offset:64                             // 00000000404C: D86C0040 51000011
	ds_read_b32 v82, v17 offset:2176                           // 000000004054: D86C0880 52000011
	ds_read_b32 v83, v17 offset:2240                           // 00000000405C: D86C08C0 53000011
	ds_read_b32 v84, v17 offset:4352                           // 000000004064: D86C1100 54000011
	ds_read_b32 v85, v17 offset:4416                           // 00000000406C: D86C1140 55000011
	ds_read_b32 v86, v17 offset:6528                           // 000000004074: D86C1980 56000011
	ds_read_b32 v87, v17 offset:6592                           // 00000000407C: D86C19C0 57000011
	ds_read_b32 v88, v17 offset:8704                           // 000000004084: D86C2200 58000011
	ds_read_b32 v89, v17 offset:8768                           // 00000000408C: D86C2240 59000011
	ds_read_b32 v90, v17 offset:10880                          // 000000004094: D86C2A80 5A000011
	ds_read_b32 v91, v17 offset:10944                          // 00000000409C: D86C2AC0 5B000011
	ds_read_b32 v92, v17 offset:13056                          // 0000000040A4: D86C3300 5C000011
	ds_read_b32 v93, v17 offset:13120                          // 0000000040AC: D86C3340 5D000011
	ds_read_b32 v94, v17 offset:15232                          // 0000000040B4: D86C3B80 5E000011
	ds_read_b32 v95, v17 offset:15296                          // 0000000040BC: D86C3BC0 5F000011
	s_waitcnt lgkmcnt(0)                                       // 0000000040C4: BF8CC07F
	s_mov_b32 s16, -1                                          // 0000000040C8: BE9000C1
	s_mov_b32 s17, -1                                          // 0000000040CC: BE9100C1
	v_mov_b32_e32 v7, 0                                        // 0000000040D0: 7E0E0280
	s_add_u32 s8, 0x100, s8                                    // 0000000040D4: 800808FF 00000100
	s_addc_u32 s9, 0, s9                                       // 0000000040DC: 82090980
	s_or_b32 s9, s9, 0x40000                                   // 0000000040E0: 8709FF09 00040000
	s_mov_b64 exec, s[16:17]                                   // 0000000040E8: BEFE0110
	v_mov_b32_e32 v6, v64                                      // 0000000040EC: 7E0C0340
	s_mov_b64 s[52:53], 0                                      // 0000000040F0: BEB40180
	v_readlane_b32 s72, v3, 0                                  // 0000000040F4: D2890048 00010103
	s_cmp_lt_u32 s72, s62                                      // 0000000040FC: BF0A3E48
	s_cselect_b32 s20, s16, s52                                // 000000004100: 85143410
	v_readlane_b32 s72, v3, 1                                  // 000000004104: D2890048 00010303
	s_cmp_lt_u32 s72, s62                                      // 00000000410C: BF0A3E48
	s_cselect_b32 s21, s16, s52                                // 000000004110: 85153410
	s_mov_b64 exec, s[20:21]                                   // 000000004114: BEFE0114
	buffer_store_dword v80, v6, s[8:11], 0 offen               // 000000004118: E0701000 80025006
	buffer_store_dword v82, v6, s[8:11], 0 offen offset:128    // 000000004120: E0701080 80025206
	s_mov_b64 exec, s[16:17]                                   // 000000004128: BEFE0110
	v_mov_b32_e32 v6, v65                                      // 00000000412C: 7E0C0341
	s_mov_b64 s[52:53], 0                                      // 000000004130: BEB40180
	v_readlane_b32 s72, v3, 2                                  // 000000004134: D2890048 00010503
	s_cmp_lt_u32 s72, s62                                      // 00000000413C: BF0A3E48
	s_cselect_b32 s20, s16, s52                                // 000000004140: 85143410
	v_readlane_b32 s72, v3, 3                                  // 000000004144: D2890048 00010703
	s_cmp_lt_u32 s72, s62                                      // 00000000414C: BF0A3E48
	s_cselect_b32 s21, s16, s52                                // 000000004150: 85153410
	s_mov_b64 exec, s[20:21]                                   // 000000004154: BEFE0114
	buffer_store_dword v81, v6, s[8:11], 0 offen               // 000000004158: E0701000 80025106
	buffer_store_dword v83, v6, s[8:11], 0 offen offset:128    // 000000004160: E0701080 80025306
	s_mov_b64 exec, s[16:17]                                   // 000000004168: BEFE0110
	v_mov_b32_e32 v6, v66                                      // 00000000416C: 7E0C0342
	s_mov_b64 s[52:53], 0                                      // 000000004170: BEB40180
	v_readlane_b32 s72, v3, 4                                  // 000000004174: D2890048 00010903
	s_cmp_lt_u32 s72, s62                                      // 00000000417C: BF0A3E48
	s_cselect_b32 s20, s16, s52                                // 000000004180: 85143410
	v_readlane_b32 s72, v3, 5                                  // 000000004184: D2890048 00010B03
	s_cmp_lt_u32 s72, s62                                      // 00000000418C: BF0A3E48
	s_cselect_b32 s21, s16, s52                                // 000000004190: 85153410
	s_mov_b64 exec, s[20:21]                                   // 000000004194: BEFE0114
	buffer_store_dword v84, v6, s[8:11], 0 offen               // 000000004198: E0701000 80025406
	buffer_store_dword v86, v6, s[8:11], 0 offen offset:128    // 0000000041A0: E0701080 80025606
	s_mov_b64 exec, s[16:17]                                   // 0000000041A8: BEFE0110
	v_mov_b32_e32 v6, v67                                      // 0000000041AC: 7E0C0343
	s_mov_b64 s[52:53], 0                                      // 0000000041B0: BEB40180
	v_readlane_b32 s72, v3, 6                                  // 0000000041B4: D2890048 00010D03
	s_cmp_lt_u32 s72, s62                                      // 0000000041BC: BF0A3E48
	s_cselect_b32 s20, s16, s52                                // 0000000041C0: 85143410
	v_readlane_b32 s72, v3, 7                                  // 0000000041C4: D2890048 00010F03
	s_cmp_lt_u32 s72, s62                                      // 0000000041CC: BF0A3E48
	s_cselect_b32 s21, s16, s52                                // 0000000041D0: 85153410
	s_mov_b64 exec, s[20:21]                                   // 0000000041D4: BEFE0114
	buffer_store_dword v85, v6, s[8:11], 0 offen               // 0000000041D8: E0701000 80025506
	buffer_store_dword v87, v6, s[8:11], 0 offen offset:128    // 0000000041E0: E0701080 80025706
	s_mov_b64 exec, s[16:17]                                   // 0000000041E8: BEFE0110
	v_mov_b32_e32 v6, v68                                      // 0000000041EC: 7E0C0344
	s_mov_b64 s[52:53], 0                                      // 0000000041F0: BEB40180
	v_readlane_b32 s72, v3, 8                                  // 0000000041F4: D2890048 00011103
	s_cmp_lt_u32 s72, s62                                      // 0000000041FC: BF0A3E48
	s_cselect_b32 s20, s16, s52                                // 000000004200: 85143410
	v_readlane_b32 s72, v3, 9                                  // 000000004204: D2890048 00011303
	s_cmp_lt_u32 s72, s62                                      // 00000000420C: BF0A3E48
	s_cselect_b32 s21, s16, s52                                // 000000004210: 85153410
	s_mov_b64 exec, s[20:21]                                   // 000000004214: BEFE0114
	buffer_store_dword v88, v6, s[8:11], 0 offen               // 000000004218: E0701000 80025806
	buffer_store_dword v90, v6, s[8:11], 0 offen offset:128    // 000000004220: E0701080 80025A06
	s_mov_b64 exec, s[16:17]                                   // 000000004228: BEFE0110
	v_mov_b32_e32 v6, v69                                      // 00000000422C: 7E0C0345
	s_mov_b64 s[52:53], 0                                      // 000000004230: BEB40180
	v_readlane_b32 s72, v3, 10                                 // 000000004234: D2890048 00011503
	s_cmp_lt_u32 s72, s62                                      // 00000000423C: BF0A3E48
	s_cselect_b32 s20, s16, s52                                // 000000004240: 85143410
	v_readlane_b32 s72, v3, 11                                 // 000000004244: D2890048 00011703
	s_cmp_lt_u32 s72, s62                                      // 00000000424C: BF0A3E48
	s_cselect_b32 s21, s16, s52                                // 000000004250: 85153410
	s_mov_b64 exec, s[20:21]                                   // 000000004254: BEFE0114
	buffer_store_dword v89, v6, s[8:11], 0 offen               // 000000004258: E0701000 80025906
	buffer_store_dword v91, v6, s[8:11], 0 offen offset:128    // 000000004260: E0701080 80025B06
	s_mov_b64 exec, s[16:17]                                   // 000000004268: BEFE0110
	v_mov_b32_e32 v6, v70                                      // 00000000426C: 7E0C0346
	s_mov_b64 s[52:53], 0                                      // 000000004270: BEB40180
	v_readlane_b32 s72, v3, 12                                 // 000000004274: D2890048 00011903
	s_cmp_lt_u32 s72, s62                                      // 00000000427C: BF0A3E48
	s_cselect_b32 s20, s16, s52                                // 000000004280: 85143410
	v_readlane_b32 s72, v3, 13                                 // 000000004284: D2890048 00011B03
	s_cmp_lt_u32 s72, s62                                      // 00000000428C: BF0A3E48
	s_cselect_b32 s21, s16, s52                                // 000000004290: 85153410
	s_mov_b64 exec, s[20:21]                                   // 000000004294: BEFE0114
	buffer_store_dword v92, v6, s[8:11], 0 offen               // 000000004298: E0701000 80025C06
	buffer_store_dword v94, v6, s[8:11], 0 offen offset:128    // 0000000042A0: E0701080 80025E06
	s_mov_b64 exec, s[16:17]                                   // 0000000042A8: BEFE0110
	v_mov_b32_e32 v6, v71                                      // 0000000042AC: 7E0C0347
	s_mov_b64 s[52:53], 0                                      // 0000000042B0: BEB40180
	v_readlane_b32 s72, v3, 14                                 // 0000000042B4: D2890048 00011D03
	s_cmp_lt_u32 s72, s62                                      // 0000000042BC: BF0A3E48
	s_cselect_b32 s20, s16, s52                                // 0000000042C0: 85143410
	v_readlane_b32 s72, v3, 15                                 // 0000000042C4: D2890048 00011F03
	s_cmp_lt_u32 s72, s62                                      // 0000000042CC: BF0A3E48
	s_cselect_b32 s21, s16, s52                                // 0000000042D0: 85153410
	s_mov_b64 exec, s[20:21]                                   // 0000000042D4: BEFE0114
	buffer_store_dword v93, v6, s[8:11], 0 offen               // 0000000042D8: E0701000 80025D06
	buffer_store_dword v95, v6, s[8:11], 0 offen offset:128    // 0000000042E0: E0701080 80025F06
	s_mov_b64 exec, s[16:17]                                   // 0000000042E8: BEFE0110
	s_branch label_117A                                        // 0000000042EC: BF820AFB

00000000000042f0 <label_067C>:
	ds_write_b64 v16, v[48:49]                                 // 0000000042F0: D89A0000 00003010
	ds_write_b64 v16, v[52:53] offset:4352                     // 0000000042F8: D89A1100 00003410
	ds_write_b64 v16, v[56:57] offset:8704                     // 000000004300: D89A2200 00003810
	ds_write_b64 v16, v[60:61] offset:13056                    // 000000004308: D89A3300 00003C10
	ds_write_b64 v16, v[64:65] offset:2176                     // 000000004310: D89A0880 00004010
	ds_write_b64 v16, v[68:69] offset:6528                     // 000000004318: D89A1980 00004410
	ds_write_b64 v16, v[72:73] offset:10880                    // 000000004320: D89A2A80 00004810
	ds_write_b64 v16, v[76:77] offset:15232                    // 000000004328: D89A3B80 00004C10
	v_lshrrev_b32_e32 v4, 5, v0                                // 000000004330: 20080085
	v_xor_b32_e32 v5, 1, v4                                    // 000000004334: 2A0A0881
	s_mul_i32 s52, s61, 2                                      // 000000004338: 9234823D
	s_cmp_eq_u32 s74, 0                                        // 00000000433C: BF06804A
	s_cselect_b32 s53, 1, 4                                    // 000000004340: 85358481
	s_mul_i32 s52, s53, s52                                    // 000000004344: 92343435
	v_readlane_b32 s72, v3, 0                                  // 000000004348: D2890048 00010103
	s_mul_i32 s72, s72, s66                                    // 000000004350: 92484248
	v_mul_lo_u32 v6, v5, s72                                   // 000000004354: D2850006 00009105
	v_readlane_b32 s72, v3, 1                                  // 00000000435C: D2890048 00010303
	s_mul_i32 s72, s72, s66                                    // 000000004364: 92484248
	v_mul_lo_u32 v7, v4, s72                                   // 000000004368: D2850007 00009104
	v_add_u32_e32 v64, v6, v7                                  // 000000004370: 68800F06
	v_readlane_b32 s72, v3, 2                                  // 000000004374: D2890048 00010503
	s_mul_i32 s72, s72, s66                                    // 00000000437C: 92484248
	v_mul_lo_u32 v6, v5, s72                                   // 000000004380: D2850006 00009105
	v_readlane_b32 s72, v3, 3                                  // 000000004388: D2890048 00010703
	s_mul_i32 s72, s72, s66                                    // 000000004390: 92484248
	v_mul_lo_u32 v7, v4, s72                                   // 000000004394: D2850007 00009104
	v_add_u32_e32 v65, v6, v7                                  // 00000000439C: 68820F06
	v_readlane_b32 s72, v3, 4                                  // 0000000043A0: D2890048 00010903
	s_mul_i32 s72, s72, s66                                    // 0000000043A8: 92484248
	v_mul_lo_u32 v6, v5, s72                                   // 0000000043AC: D2850006 00009105
	v_readlane_b32 s72, v3, 5                                  // 0000000043B4: D2890048 00010B03
	s_mul_i32 s72, s72, s66                                    // 0000000043BC: 92484248
	v_mul_lo_u32 v7, v4, s72                                   // 0000000043C0: D2850007 00009104
	v_add_u32_e32 v66, v6, v7                                  // 0000000043C8: 68840F06
	v_readlane_b32 s72, v3, 6                                  // 0000000043CC: D2890048 00010D03
	s_mul_i32 s72, s72, s66                                    // 0000000043D4: 92484248
	v_mul_lo_u32 v6, v5, s72                                   // 0000000043D8: D2850006 00009105
	v_readlane_b32 s72, v3, 7                                  // 0000000043E0: D2890048 00010F03
	s_mul_i32 s72, s72, s66                                    // 0000000043E8: 92484248
	v_mul_lo_u32 v7, v4, s72                                   // 0000000043EC: D2850007 00009104
	v_add_u32_e32 v67, v6, v7                                  // 0000000043F4: 68860F06
	v_readlane_b32 s72, v3, 8                                  // 0000000043F8: D2890048 00011103
	s_mul_i32 s72, s72, s66                                    // 000000004400: 92484248
	v_mul_lo_u32 v6, v5, s72                                   // 000000004404: D2850006 00009105
	v_readlane_b32 s72, v3, 9                                  // 00000000440C: D2890048 00011303
	s_mul_i32 s72, s72, s66                                    // 000000004414: 92484248
	v_mul_lo_u32 v7, v4, s72                                   // 000000004418: D2850007 00009104
	v_add_u32_e32 v68, v6, v7                                  // 000000004420: 68880F06
	v_readlane_b32 s72, v3, 10                                 // 000000004424: D2890048 00011503
	s_mul_i32 s72, s72, s66                                    // 00000000442C: 92484248
	v_mul_lo_u32 v6, v5, s72                                   // 000000004430: D2850006 00009105
	v_readlane_b32 s72, v3, 11                                 // 000000004438: D2890048 00011703
	s_mul_i32 s72, s72, s66                                    // 000000004440: 92484248
	v_mul_lo_u32 v7, v4, s72                                   // 000000004444: D2850007 00009104
	v_add_u32_e32 v69, v6, v7                                  // 00000000444C: 688A0F06
	v_readlane_b32 s72, v3, 12                                 // 000000004450: D2890048 00011903
	s_mul_i32 s72, s72, s66                                    // 000000004458: 92484248
	v_mul_lo_u32 v6, v5, s72                                   // 00000000445C: D2850006 00009105
	v_readlane_b32 s72, v3, 13                                 // 000000004464: D2890048 00011B03
	s_mul_i32 s72, s72, s66                                    // 00000000446C: 92484248
	v_mul_lo_u32 v7, v4, s72                                   // 000000004470: D2850007 00009104
	v_add_u32_e32 v70, v6, v7                                  // 000000004478: 688C0F06
	v_readlane_b32 s72, v3, 14                                 // 00000000447C: D2890048 00011D03
	s_mul_i32 s72, s72, s66                                    // 000000004484: 92484248
	v_mul_lo_u32 v6, v5, s72                                   // 000000004488: D2850006 00009105
	v_readlane_b32 s72, v3, 15                                 // 000000004490: D2890048 00011F03
	s_mul_i32 s72, s72, s66                                    // 000000004498: 92484248
	v_mul_lo_u32 v7, v4, s72                                   // 00000000449C: D2850007 00009104
	v_add_u32_e32 v71, v6, v7                                  // 0000000044A4: 688E0F06
	v_and_b32_e32 v4, 31, v0                                   // 0000000044A8: 2608009F
	v_lshrrev_b32_e32 v4, 1, v4                                // 0000000044AC: 20080881
	s_cmp_eq_u32 s74, 0                                        // 0000000044B0: BF06804A
	s_cselect_b32 s53, 2, 4                                    // 0000000044B4: 85358482
	v_mul_lo_u32 v4, v4, s53                                   // 0000000044B8: D2850004 00006B04
	v_and_b32_e64 v5, v0, 1                                    // 0000000044C0: D1130005 00010300
	v_add_u32_e32 v4, v4, v5                                   // 0000000044C8: 68080B04
	v_lshlrev_b32_e32 v4, 2, v4                                // 0000000044CC: 24080882
	v_add_u32_e32 v64, v64, v4                                 // 0000000044D0: 68800940
	v_add_u32_e32 v65, v65, v4                                 // 0000000044D4: 68820941
	v_add_u32_e32 v66, v66, v4                                 // 0000000044D8: 68840942
	v_add_u32_e32 v67, v67, v4                                 // 0000000044DC: 68860943
	v_add_u32_e32 v68, v68, v4                                 // 0000000044E0: 68880944
	v_add_u32_e32 v69, v69, v4                                 // 0000000044E4: 688A0945
	v_add_u32_e32 v70, v70, v4                                 // 0000000044E8: 688C0946
	v_add_u32_e32 v71, v71, v4                                 // 0000000044EC: 688E0947
	s_waitcnt lgkmcnt(0)                                       // 0000000044F0: BF8CC07F
	s_barrier                                                  // 0000000044F4: BF8A0000
	ds_read_b32 v48, v17                                       // 0000000044F8: D86C0000 30000011
	ds_read_b32 v49, v17 offset:64                             // 000000004500: D86C0040 31000011
	ds_read_b32 v52, v17 offset:2176                           // 000000004508: D86C0880 34000011
	ds_read_b32 v53, v17 offset:2240                           // 000000004510: D86C08C0 35000011
	ds_read_b32 v56, v17 offset:4352                           // 000000004518: D86C1100 38000011
	ds_read_b32 v57, v17 offset:4416                           // 000000004520: D86C1140 39000011
	ds_read_b32 v60, v17 offset:6528                           // 000000004528: D86C1980 3C000011
	ds_read_b32 v61, v17 offset:6592                           // 000000004530: D86C19C0 3D000011
	ds_read_b32 v64, v17 offset:8704                           // 000000004538: D86C2200 40000011
	ds_read_b32 v65, v17 offset:8768                           // 000000004540: D86C2240 41000011
	ds_read_b32 v68, v17 offset:10880                          // 000000004548: D86C2A80 44000011
	ds_read_b32 v69, v17 offset:10944                          // 000000004550: D86C2AC0 45000011
	ds_read_b32 v72, v17 offset:13056                          // 000000004558: D86C3300 48000011
	ds_read_b32 v73, v17 offset:13120                          // 000000004560: D86C3340 49000011
	ds_read_b32 v76, v17 offset:15232                          // 000000004568: D86C3B80 4C000011
	ds_read_b32 v77, v17 offset:15296                          // 000000004570: D86C3BC0 4D000011
	s_waitcnt lgkmcnt(0)                                       // 000000004578: BF8CC07F
	s_mov_b32 s16, -1                                          // 00000000457C: BE9000C1
	s_mov_b32 s17, -1                                          // 000000004580: BE9100C1
	v_mov_b32_e32 v7, 0                                        // 000000004584: 7E0E0280
	s_mov_b64 exec, s[16:17]                                   // 000000004588: BEFE0110
	v_mov_b32_e32 v6, v64                                      // 00000000458C: 7E0C0340
	s_mov_b64 s[52:53], 0                                      // 000000004590: BEB40180
	v_readlane_b32 s72, v3, 0                                  // 000000004594: D2890048 00010103
	s_cmp_lt_u32 s72, s62                                      // 00000000459C: BF0A3E48
	s_cselect_b32 s20, s16, s52                                // 0000000045A0: 85143410
	v_readlane_b32 s72, v3, 1                                  // 0000000045A4: D2890048 00010303
	s_cmp_lt_u32 s72, s62                                      // 0000000045AC: BF0A3E48
	s_cselect_b32 s21, s16, s52                                // 0000000045B0: 85153410
	s_mov_b64 exec, s[20:21]                                   // 0000000045B4: BEFE0114
	global_atomic_add_f32 v6, v48, s[8:9]                      // 0000000045B8: DD348000 00083006
	global_atomic_add_f32 v6, v52, s[8:9] offset:256           // 0000000045C0: DD348100 00083406
	s_mov_b64 exec, s[16:17]                                   // 0000000045C8: BEFE0110
	v_mov_b32_e32 v6, v65                                      // 0000000045CC: 7E0C0341
	s_mov_b64 s[52:53], 0                                      // 0000000045D0: BEB40180
	v_readlane_b32 s72, v3, 2                                  // 0000000045D4: D2890048 00010503
	s_cmp_lt_u32 s72, s62                                      // 0000000045DC: BF0A3E48
	s_cselect_b32 s20, s16, s52                                // 0000000045E0: 85143410
	v_readlane_b32 s72, v3, 3                                  // 0000000045E4: D2890048 00010703
	s_cmp_lt_u32 s72, s62                                      // 0000000045EC: BF0A3E48
	s_cselect_b32 s21, s16, s52                                // 0000000045F0: 85153410
	s_mov_b64 exec, s[20:21]                                   // 0000000045F4: BEFE0114
	global_atomic_add_f32 v6, v49, s[8:9]                      // 0000000045F8: DD348000 00083106
	global_atomic_add_f32 v6, v53, s[8:9] offset:256           // 000000004600: DD348100 00083506
	s_mov_b64 exec, s[16:17]                                   // 000000004608: BEFE0110
	v_mov_b32_e32 v6, v66                                      // 00000000460C: 7E0C0342
	s_mov_b64 s[52:53], 0                                      // 000000004610: BEB40180
	v_readlane_b32 s72, v3, 4                                  // 000000004614: D2890048 00010903
	s_cmp_lt_u32 s72, s62                                      // 00000000461C: BF0A3E48
	s_cselect_b32 s20, s16, s52                                // 000000004620: 85143410
	v_readlane_b32 s72, v3, 5                                  // 000000004624: D2890048 00010B03
	s_cmp_lt_u32 s72, s62                                      // 00000000462C: BF0A3E48
	s_cselect_b32 s21, s16, s52                                // 000000004630: 85153410
	s_mov_b64 exec, s[20:21]                                   // 000000004634: BEFE0114
	global_atomic_add_f32 v6, v56, s[8:9]                      // 000000004638: DD348000 00083806
	global_atomic_add_f32 v6, v60, s[8:9] offset:256           // 000000004640: DD348100 00083C06
	s_mov_b64 exec, s[16:17]                                   // 000000004648: BEFE0110
	v_mov_b32_e32 v6, v67                                      // 00000000464C: 7E0C0343
	s_mov_b64 s[52:53], 0                                      // 000000004650: BEB40180
	v_readlane_b32 s72, v3, 6                                  // 000000004654: D2890048 00010D03
	s_cmp_lt_u32 s72, s62                                      // 00000000465C: BF0A3E48
	s_cselect_b32 s20, s16, s52                                // 000000004660: 85143410
	v_readlane_b32 s72, v3, 7                                  // 000000004664: D2890048 00010F03
	s_cmp_lt_u32 s72, s62                                      // 00000000466C: BF0A3E48
	s_cselect_b32 s21, s16, s52                                // 000000004670: 85153410
	s_mov_b64 exec, s[20:21]                                   // 000000004674: BEFE0114
	global_atomic_add_f32 v6, v57, s[8:9]                      // 000000004678: DD348000 00083906
	global_atomic_add_f32 v6, v61, s[8:9] offset:256           // 000000004680: DD348100 00083D06
	s_mov_b64 exec, s[16:17]                                   // 000000004688: BEFE0110
	v_mov_b32_e32 v6, v68                                      // 00000000468C: 7E0C0344
	s_mov_b64 s[52:53], 0                                      // 000000004690: BEB40180
	v_readlane_b32 s72, v3, 8                                  // 000000004694: D2890048 00011103
	s_cmp_lt_u32 s72, s62                                      // 00000000469C: BF0A3E48
	s_cselect_b32 s20, s16, s52                                // 0000000046A0: 85143410
	v_readlane_b32 s72, v3, 9                                  // 0000000046A4: D2890048 00011303
	s_cmp_lt_u32 s72, s62                                      // 0000000046AC: BF0A3E48
	s_cselect_b32 s21, s16, s52                                // 0000000046B0: 85153410
	s_mov_b64 exec, s[20:21]                                   // 0000000046B4: BEFE0114
	global_atomic_add_f32 v6, v64, s[8:9]                      // 0000000046B8: DD348000 00084006
	global_atomic_add_f32 v6, v68, s[8:9] offset:256           // 0000000046C0: DD348100 00084406
	s_mov_b64 exec, s[16:17]                                   // 0000000046C8: BEFE0110
	v_mov_b32_e32 v6, v69                                      // 0000000046CC: 7E0C0345
	s_mov_b64 s[52:53], 0                                      // 0000000046D0: BEB40180
	v_readlane_b32 s72, v3, 10                                 // 0000000046D4: D2890048 00011503
	s_cmp_lt_u32 s72, s62                                      // 0000000046DC: BF0A3E48
	s_cselect_b32 s20, s16, s52                                // 0000000046E0: 85143410
	v_readlane_b32 s72, v3, 11                                 // 0000000046E4: D2890048 00011703
	s_cmp_lt_u32 s72, s62                                      // 0000000046EC: BF0A3E48
	s_cselect_b32 s21, s16, s52                                // 0000000046F0: 85153410
	s_mov_b64 exec, s[20:21]                                   // 0000000046F4: BEFE0114
	global_atomic_add_f32 v6, v65, s[8:9]                      // 0000000046F8: DD348000 00084106
	global_atomic_add_f32 v6, v69, s[8:9] offset:256           // 000000004700: DD348100 00084506
	s_mov_b64 exec, s[16:17]                                   // 000000004708: BEFE0110
	v_mov_b32_e32 v6, v70                                      // 00000000470C: 7E0C0346
	s_mov_b64 s[52:53], 0                                      // 000000004710: BEB40180
	v_readlane_b32 s72, v3, 12                                 // 000000004714: D2890048 00011903
	s_cmp_lt_u32 s72, s62                                      // 00000000471C: BF0A3E48
	s_cselect_b32 s20, s16, s52                                // 000000004720: 85143410
	v_readlane_b32 s72, v3, 13                                 // 000000004724: D2890048 00011B03
	s_cmp_lt_u32 s72, s62                                      // 00000000472C: BF0A3E48
	s_cselect_b32 s21, s16, s52                                // 000000004730: 85153410
	s_mov_b64 exec, s[20:21]                                   // 000000004734: BEFE0114
	global_atomic_add_f32 v6, v72, s[8:9]                      // 000000004738: DD348000 00084806
	global_atomic_add_f32 v6, v76, s[8:9] offset:256           // 000000004740: DD348100 00084C06
	s_mov_b64 exec, s[16:17]                                   // 000000004748: BEFE0110
	v_mov_b32_e32 v6, v71                                      // 00000000474C: 7E0C0347
	s_mov_b64 s[52:53], 0                                      // 000000004750: BEB40180
	v_readlane_b32 s72, v3, 14                                 // 000000004754: D2890048 00011D03
	s_cmp_lt_u32 s72, s62                                      // 00000000475C: BF0A3E48
	s_cselect_b32 s20, s16, s52                                // 000000004760: 85143410
	v_readlane_b32 s72, v3, 15                                 // 000000004764: D2890048 00011F03
	s_cmp_lt_u32 s72, s62                                      // 00000000476C: BF0A3E48
	s_cselect_b32 s21, s16, s52                                // 000000004770: 85153410
	s_mov_b64 exec, s[20:21]                                   // 000000004774: BEFE0114
	global_atomic_add_f32 v6, v73, s[8:9]                      // 000000004778: DD348000 00084906
	global_atomic_add_f32 v6, v77, s[8:9] offset:256           // 000000004780: DD348100 00084D06
	s_mov_b64 exec, s[16:17]                                   // 000000004788: BEFE0110
	ds_write_b64 v16, v[50:51]                                 // 00000000478C: D89A0000 00003210
	ds_write_b64 v16, v[54:55] offset:4352                     // 000000004794: D89A1100 00003610
	ds_write_b64 v16, v[58:59] offset:8704                     // 00000000479C: D89A2200 00003A10
	ds_write_b64 v16, v[62:63] offset:13056                    // 0000000047A4: D89A3300 00003E10
	ds_write_b64 v16, v[66:67] offset:2176                     // 0000000047AC: D89A0880 00004210
	ds_write_b64 v16, v[70:71] offset:6528                     // 0000000047B4: D89A1980 00004610
	ds_write_b64 v16, v[74:75] offset:10880                    // 0000000047BC: D89A2A80 00004A10
	ds_write_b64 v16, v[78:79] offset:15232                    // 0000000047C4: D89A3B80 00004E10
	s_waitcnt lgkmcnt(0)                                       // 0000000047CC: BF8CC07F
	s_barrier                                                  // 0000000047D0: BF8A0000
	ds_read_b32 v50, v17                                       // 0000000047D4: D86C0000 32000011
	ds_read_b32 v51, v17 offset:64                             // 0000000047DC: D86C0040 33000011
	ds_read_b32 v54, v17 offset:2176                           // 0000000047E4: D86C0880 36000011
	ds_read_b32 v55, v17 offset:2240                           // 0000000047EC: D86C08C0 37000011
	ds_read_b32 v58, v17 offset:4352                           // 0000000047F4: D86C1100 3A000011
	ds_read_b32 v59, v17 offset:4416                           // 0000000047FC: D86C1140 3B000011
	ds_read_b32 v62, v17 offset:6528                           // 000000004804: D86C1980 3E000011
	ds_read_b32 v63, v17 offset:6592                           // 00000000480C: D86C19C0 3F000011
	ds_read_b32 v66, v17 offset:8704                           // 000000004814: D86C2200 42000011
	ds_read_b32 v67, v17 offset:8768                           // 00000000481C: D86C2240 43000011
	ds_read_b32 v70, v17 offset:10880                          // 000000004824: D86C2A80 46000011
	ds_read_b32 v71, v17 offset:10944                          // 00000000482C: D86C2AC0 47000011
	ds_read_b32 v74, v17 offset:13056                          // 000000004834: D86C3300 4A000011
	ds_read_b32 v75, v17 offset:13120                          // 00000000483C: D86C3340 4B000011
	ds_read_b32 v78, v17 offset:15232                          // 000000004844: D86C3B80 4E000011
	ds_read_b32 v79, v17 offset:15296                          // 00000000484C: D86C3BC0 4F000011
	s_waitcnt lgkmcnt(0)                                       // 000000004854: BF8CC07F
	v_mov_b32_e32 v7, 0                                        // 000000004858: 7E0E0280
	s_mov_b64 exec, s[16:17]                                   // 00000000485C: BEFE0110
	v_mov_b32_e32 v6, v64                                      // 000000004860: 7E0C0340
	s_mov_b64 s[52:53], 0                                      // 000000004864: BEB40180
	v_readlane_b32 s72, v3, 0                                  // 000000004868: D2890048 00010103
	s_cmp_lt_u32 s72, s62                                      // 000000004870: BF0A3E48
	s_cselect_b32 s20, s16, s52                                // 000000004874: 85143410
	v_readlane_b32 s72, v3, 1                                  // 000000004878: D2890048 00010303
	s_cmp_lt_u32 s72, s62                                      // 000000004880: BF0A3E48
	s_cselect_b32 s21, s16, s52                                // 000000004884: 85153410
	s_mov_b64 exec, s[20:21]                                   // 000000004888: BEFE0114
	global_atomic_add_f32 v6, v50, s[8:9] offset:8             // 00000000488C: DD348008 00083206
	global_atomic_add_f32 v6, v54, s[8:9] offset:264           // 000000004894: DD348108 00083606
	s_mov_b64 exec, s[16:17]                                   // 00000000489C: BEFE0110
	v_mov_b32_e32 v6, v65                                      // 0000000048A0: 7E0C0341
	s_mov_b64 s[52:53], 0                                      // 0000000048A4: BEB40180
	v_readlane_b32 s72, v3, 2                                  // 0000000048A8: D2890048 00010503
	s_cmp_lt_u32 s72, s62                                      // 0000000048B0: BF0A3E48
	s_cselect_b32 s20, s16, s52                                // 0000000048B4: 85143410
	v_readlane_b32 s72, v3, 3                                  // 0000000048B8: D2890048 00010703
	s_cmp_lt_u32 s72, s62                                      // 0000000048C0: BF0A3E48
	s_cselect_b32 s21, s16, s52                                // 0000000048C4: 85153410
	s_mov_b64 exec, s[20:21]                                   // 0000000048C8: BEFE0114
	global_atomic_add_f32 v6, v51, s[8:9] offset:8             // 0000000048CC: DD348008 00083306
	global_atomic_add_f32 v6, v55, s[8:9] offset:264           // 0000000048D4: DD348108 00083706
	s_mov_b64 exec, s[16:17]                                   // 0000000048DC: BEFE0110
	v_mov_b32_e32 v6, v66                                      // 0000000048E0: 7E0C0342
	s_mov_b64 s[52:53], 0                                      // 0000000048E4: BEB40180
	v_readlane_b32 s72, v3, 4                                  // 0000000048E8: D2890048 00010903
	s_cmp_lt_u32 s72, s62                                      // 0000000048F0: BF0A3E48
	s_cselect_b32 s20, s16, s52                                // 0000000048F4: 85143410
	v_readlane_b32 s72, v3, 5                                  // 0000000048F8: D2890048 00010B03
	s_cmp_lt_u32 s72, s62                                      // 000000004900: BF0A3E48
	s_cselect_b32 s21, s16, s52                                // 000000004904: 85153410
	s_mov_b64 exec, s[20:21]                                   // 000000004908: BEFE0114
	global_atomic_add_f32 v6, v58, s[8:9] offset:8             // 00000000490C: DD348008 00083A06
	global_atomic_add_f32 v6, v62, s[8:9] offset:264           // 000000004914: DD348108 00083E06
	s_mov_b64 exec, s[16:17]                                   // 00000000491C: BEFE0110
	v_mov_b32_e32 v6, v67                                      // 000000004920: 7E0C0343
	s_mov_b64 s[52:53], 0                                      // 000000004924: BEB40180
	v_readlane_b32 s72, v3, 6                                  // 000000004928: D2890048 00010D03
	s_cmp_lt_u32 s72, s62                                      // 000000004930: BF0A3E48
	s_cselect_b32 s20, s16, s52                                // 000000004934: 85143410
	v_readlane_b32 s72, v3, 7                                  // 000000004938: D2890048 00010F03
	s_cmp_lt_u32 s72, s62                                      // 000000004940: BF0A3E48
	s_cselect_b32 s21, s16, s52                                // 000000004944: 85153410
	s_mov_b64 exec, s[20:21]                                   // 000000004948: BEFE0114
	global_atomic_add_f32 v6, v59, s[8:9] offset:8             // 00000000494C: DD348008 00083B06
	global_atomic_add_f32 v6, v63, s[8:9] offset:264           // 000000004954: DD348108 00083F06
	s_mov_b64 exec, s[16:17]                                   // 00000000495C: BEFE0110
	v_mov_b32_e32 v6, v68                                      // 000000004960: 7E0C0344
	s_mov_b64 s[52:53], 0                                      // 000000004964: BEB40180
	v_readlane_b32 s72, v3, 8                                  // 000000004968: D2890048 00011103
	s_cmp_lt_u32 s72, s62                                      // 000000004970: BF0A3E48
	s_cselect_b32 s20, s16, s52                                // 000000004974: 85143410
	v_readlane_b32 s72, v3, 9                                  // 000000004978: D2890048 00011303
	s_cmp_lt_u32 s72, s62                                      // 000000004980: BF0A3E48
	s_cselect_b32 s21, s16, s52                                // 000000004984: 85153410
	s_mov_b64 exec, s[20:21]                                   // 000000004988: BEFE0114
	global_atomic_add_f32 v6, v66, s[8:9] offset:8             // 00000000498C: DD348008 00084206
	global_atomic_add_f32 v6, v70, s[8:9] offset:264           // 000000004994: DD348108 00084606
	s_mov_b64 exec, s[16:17]                                   // 00000000499C: BEFE0110
	v_mov_b32_e32 v6, v69                                      // 0000000049A0: 7E0C0345
	s_mov_b64 s[52:53], 0                                      // 0000000049A4: BEB40180
	v_readlane_b32 s72, v3, 10                                 // 0000000049A8: D2890048 00011503
	s_cmp_lt_u32 s72, s62                                      // 0000000049B0: BF0A3E48
	s_cselect_b32 s20, s16, s52                                // 0000000049B4: 85143410
	v_readlane_b32 s72, v3, 11                                 // 0000000049B8: D2890048 00011703
	s_cmp_lt_u32 s72, s62                                      // 0000000049C0: BF0A3E48
	s_cselect_b32 s21, s16, s52                                // 0000000049C4: 85153410
	s_mov_b64 exec, s[20:21]                                   // 0000000049C8: BEFE0114
	global_atomic_add_f32 v6, v67, s[8:9] offset:8             // 0000000049CC: DD348008 00084306
	global_atomic_add_f32 v6, v71, s[8:9] offset:264           // 0000000049D4: DD348108 00084706
	s_mov_b64 exec, s[16:17]                                   // 0000000049DC: BEFE0110
	v_mov_b32_e32 v6, v70                                      // 0000000049E0: 7E0C0346
	s_mov_b64 s[52:53], 0                                      // 0000000049E4: BEB40180
	v_readlane_b32 s72, v3, 12                                 // 0000000049E8: D2890048 00011903
	s_cmp_lt_u32 s72, s62                                      // 0000000049F0: BF0A3E48
	s_cselect_b32 s20, s16, s52                                // 0000000049F4: 85143410
	v_readlane_b32 s72, v3, 13                                 // 0000000049F8: D2890048 00011B03
	s_cmp_lt_u32 s72, s62                                      // 000000004A00: BF0A3E48
	s_cselect_b32 s21, s16, s52                                // 000000004A04: 85153410
	s_mov_b64 exec, s[20:21]                                   // 000000004A08: BEFE0114
	global_atomic_add_f32 v6, v74, s[8:9] offset:8             // 000000004A0C: DD348008 00084A06
	global_atomic_add_f32 v6, v78, s[8:9] offset:264           // 000000004A14: DD348108 00084E06
	s_mov_b64 exec, s[16:17]                                   // 000000004A1C: BEFE0110
	v_mov_b32_e32 v6, v71                                      // 000000004A20: 7E0C0347
	s_mov_b64 s[52:53], 0                                      // 000000004A24: BEB40180
	v_readlane_b32 s72, v3, 14                                 // 000000004A28: D2890048 00011D03
	s_cmp_lt_u32 s72, s62                                      // 000000004A30: BF0A3E48
	s_cselect_b32 s20, s16, s52                                // 000000004A34: 85143410
	v_readlane_b32 s72, v3, 15                                 // 000000004A38: D2890048 00011F03
	s_cmp_lt_u32 s72, s62                                      // 000000004A40: BF0A3E48
	s_cselect_b32 s21, s16, s52                                // 000000004A44: 85153410
	s_mov_b64 exec, s[20:21]                                   // 000000004A48: BEFE0114
	global_atomic_add_f32 v6, v75, s[8:9] offset:8             // 000000004A4C: DD348008 00084B06
	global_atomic_add_f32 v6, v79, s[8:9] offset:264           // 000000004A54: DD348108 00084F06
	s_mov_b64 exec, s[16:17]                                   // 000000004A5C: BEFE0110
	ds_write_b64 v16, v[80:81]                                 // 000000004A60: D89A0000 00005010
	ds_write_b64 v16, v[84:85] offset:4352                     // 000000004A68: D89A1100 00005410
	ds_write_b64 v16, v[88:89] offset:8704                     // 000000004A70: D89A2200 00005810
	ds_write_b64 v16, v[92:93] offset:13056                    // 000000004A78: D89A3300 00005C10
	ds_write_b64 v16, v[96:97] offset:2176                     // 000000004A80: D89A0880 00006010
	ds_write_b64 v16, v[100:101] offset:6528                   // 000000004A88: D89A1980 00006410
	ds_write_b64 v16, v[104:105] offset:10880                  // 000000004A90: D89A2A80 00006810
	ds_write_b64 v16, v[108:109] offset:15232                  // 000000004A98: D89A3B80 00006C10
	s_waitcnt lgkmcnt(0)                                       // 000000004AA0: BF8CC07F
	s_barrier                                                  // 000000004AA4: BF8A0000
	ds_read_b32 v80, v17                                       // 000000004AA8: D86C0000 50000011
	ds_read_b32 v81, v17 offset:64                             // 000000004AB0: D86C0040 51000011
	ds_read_b32 v84, v17 offset:2176                           // 000000004AB8: D86C0880 54000011
	ds_read_b32 v85, v17 offset:2240                           // 000000004AC0: D86C08C0 55000011
	ds_read_b32 v88, v17 offset:4352                           // 000000004AC8: D86C1100 58000011
	ds_read_b32 v89, v17 offset:4416                           // 000000004AD0: D86C1140 59000011
	ds_read_b32 v92, v17 offset:6528                           // 000000004AD8: D86C1980 5C000011
	ds_read_b32 v93, v17 offset:6592                           // 000000004AE0: D86C19C0 5D000011
	ds_read_b32 v96, v17 offset:8704                           // 000000004AE8: D86C2200 60000011
	ds_read_b32 v97, v17 offset:8768                           // 000000004AF0: D86C2240 61000011
	ds_read_b32 v100, v17 offset:10880                         // 000000004AF8: D86C2A80 64000011
	ds_read_b32 v101, v17 offset:10944                         // 000000004B00: D86C2AC0 65000011
	ds_read_b32 v104, v17 offset:13056                         // 000000004B08: D86C3300 68000011
	ds_read_b32 v105, v17 offset:13120                         // 000000004B10: D86C3340 69000011
	ds_read_b32 v108, v17 offset:15232                         // 000000004B18: D86C3B80 6C000011
	ds_read_b32 v109, v17 offset:15296                         // 000000004B20: D86C3BC0 6D000011
	s_mul_i32 s52, s61, 4                                      // 000000004B28: 9234843D
	s_add_u32 s8, s52, s8                                      // 000000004B2C: 80080834
	s_addc_u32 s9, 0, s9                                       // 000000004B30: 82090980
	s_waitcnt lgkmcnt(0)                                       // 000000004B34: BF8CC07F
	v_mov_b32_e32 v7, 0                                        // 000000004B38: 7E0E0280
	s_mov_b64 exec, s[16:17]                                   // 000000004B3C: BEFE0110
	v_mov_b32_e32 v6, v64                                      // 000000004B40: 7E0C0340
	s_mov_b64 s[52:53], 0                                      // 000000004B44: BEB40180
	v_readlane_b32 s72, v3, 0                                  // 000000004B48: D2890048 00010103
	s_cmp_lt_u32 s72, s62                                      // 000000004B50: BF0A3E48
	s_cselect_b32 s20, s16, s52                                // 000000004B54: 85143410
	v_readlane_b32 s72, v3, 1                                  // 000000004B58: D2890048 00010303
	s_cmp_lt_u32 s72, s62                                      // 000000004B60: BF0A3E48
	s_cselect_b32 s21, s16, s52                                // 000000004B64: 85153410
	s_mov_b64 exec, s[20:21]                                   // 000000004B68: BEFE0114
	global_atomic_add_f32 v6, v80, s[8:9]                      // 000000004B6C: DD348000 00085006
	global_atomic_add_f32 v6, v84, s[8:9] offset:256           // 000000004B74: DD348100 00085406
	s_mov_b64 exec, s[16:17]                                   // 000000004B7C: BEFE0110
	v_mov_b32_e32 v6, v65                                      // 000000004B80: 7E0C0341
	s_mov_b64 s[52:53], 0                                      // 000000004B84: BEB40180
	v_readlane_b32 s72, v3, 2                                  // 000000004B88: D2890048 00010503
	s_cmp_lt_u32 s72, s62                                      // 000000004B90: BF0A3E48
	s_cselect_b32 s20, s16, s52                                // 000000004B94: 85143410
	v_readlane_b32 s72, v3, 3                                  // 000000004B98: D2890048 00010703
	s_cmp_lt_u32 s72, s62                                      // 000000004BA0: BF0A3E48
	s_cselect_b32 s21, s16, s52                                // 000000004BA4: 85153410
	s_mov_b64 exec, s[20:21]                                   // 000000004BA8: BEFE0114
	global_atomic_add_f32 v6, v81, s[8:9]                      // 000000004BAC: DD348000 00085106
	global_atomic_add_f32 v6, v85, s[8:9] offset:256           // 000000004BB4: DD348100 00085506
	s_mov_b64 exec, s[16:17]                                   // 000000004BBC: BEFE0110
	v_mov_b32_e32 v6, v66                                      // 000000004BC0: 7E0C0342
	s_mov_b64 s[52:53], 0                                      // 000000004BC4: BEB40180
	v_readlane_b32 s72, v3, 4                                  // 000000004BC8: D2890048 00010903
	s_cmp_lt_u32 s72, s62                                      // 000000004BD0: BF0A3E48
	s_cselect_b32 s20, s16, s52                                // 000000004BD4: 85143410
	v_readlane_b32 s72, v3, 5                                  // 000000004BD8: D2890048 00010B03
	s_cmp_lt_u32 s72, s62                                      // 000000004BE0: BF0A3E48
	s_cselect_b32 s21, s16, s52                                // 000000004BE4: 85153410
	s_mov_b64 exec, s[20:21]                                   // 000000004BE8: BEFE0114
	global_atomic_add_f32 v6, v88, s[8:9]                      // 000000004BEC: DD348000 00085806
	global_atomic_add_f32 v6, v92, s[8:9] offset:256           // 000000004BF4: DD348100 00085C06
	s_mov_b64 exec, s[16:17]                                   // 000000004BFC: BEFE0110
	v_mov_b32_e32 v6, v67                                      // 000000004C00: 7E0C0343
	s_mov_b64 s[52:53], 0                                      // 000000004C04: BEB40180
	v_readlane_b32 s72, v3, 6                                  // 000000004C08: D2890048 00010D03
	s_cmp_lt_u32 s72, s62                                      // 000000004C10: BF0A3E48
	s_cselect_b32 s20, s16, s52                                // 000000004C14: 85143410
	v_readlane_b32 s72, v3, 7                                  // 000000004C18: D2890048 00010F03
	s_cmp_lt_u32 s72, s62                                      // 000000004C20: BF0A3E48
	s_cselect_b32 s21, s16, s52                                // 000000004C24: 85153410
	s_mov_b64 exec, s[20:21]                                   // 000000004C28: BEFE0114
	global_atomic_add_f32 v6, v89, s[8:9]                      // 000000004C2C: DD348000 00085906
	global_atomic_add_f32 v6, v93, s[8:9] offset:256           // 000000004C34: DD348100 00085D06
	s_mov_b64 exec, s[16:17]                                   // 000000004C3C: BEFE0110
	v_mov_b32_e32 v6, v68                                      // 000000004C40: 7E0C0344
	s_mov_b64 s[52:53], 0                                      // 000000004C44: BEB40180
	v_readlane_b32 s72, v3, 8                                  // 000000004C48: D2890048 00011103
	s_cmp_lt_u32 s72, s62                                      // 000000004C50: BF0A3E48
	s_cselect_b32 s20, s16, s52                                // 000000004C54: 85143410
	v_readlane_b32 s72, v3, 9                                  // 000000004C58: D2890048 00011303
	s_cmp_lt_u32 s72, s62                                      // 000000004C60: BF0A3E48
	s_cselect_b32 s21, s16, s52                                // 000000004C64: 85153410
	s_mov_b64 exec, s[20:21]                                   // 000000004C68: BEFE0114
	global_atomic_add_f32 v6, v96, s[8:9]                      // 000000004C6C: DD348000 00086006
	global_atomic_add_f32 v6, v100, s[8:9] offset:256          // 000000004C74: DD348100 00086406
	s_mov_b64 exec, s[16:17]                                   // 000000004C7C: BEFE0110
	v_mov_b32_e32 v6, v69                                      // 000000004C80: 7E0C0345
	s_mov_b64 s[52:53], 0                                      // 000000004C84: BEB40180
	v_readlane_b32 s72, v3, 10                                 // 000000004C88: D2890048 00011503
	s_cmp_lt_u32 s72, s62                                      // 000000004C90: BF0A3E48
	s_cselect_b32 s20, s16, s52                                // 000000004C94: 85143410
	v_readlane_b32 s72, v3, 11                                 // 000000004C98: D2890048 00011703
	s_cmp_lt_u32 s72, s62                                      // 000000004CA0: BF0A3E48
	s_cselect_b32 s21, s16, s52                                // 000000004CA4: 85153410
	s_mov_b64 exec, s[20:21]                                   // 000000004CA8: BEFE0114
	global_atomic_add_f32 v6, v97, s[8:9]                      // 000000004CAC: DD348000 00086106
	global_atomic_add_f32 v6, v101, s[8:9] offset:256          // 000000004CB4: DD348100 00086506
	s_mov_b64 exec, s[16:17]                                   // 000000004CBC: BEFE0110
	v_mov_b32_e32 v6, v70                                      // 000000004CC0: 7E0C0346
	s_mov_b64 s[52:53], 0                                      // 000000004CC4: BEB40180
	v_readlane_b32 s72, v3, 12                                 // 000000004CC8: D2890048 00011903
	s_cmp_lt_u32 s72, s62                                      // 000000004CD0: BF0A3E48
	s_cselect_b32 s20, s16, s52                                // 000000004CD4: 85143410
	v_readlane_b32 s72, v3, 13                                 // 000000004CD8: D2890048 00011B03
	s_cmp_lt_u32 s72, s62                                      // 000000004CE0: BF0A3E48
	s_cselect_b32 s21, s16, s52                                // 000000004CE4: 85153410
	s_mov_b64 exec, s[20:21]                                   // 000000004CE8: BEFE0114
	global_atomic_add_f32 v6, v104, s[8:9]                     // 000000004CEC: DD348000 00086806
	global_atomic_add_f32 v6, v108, s[8:9] offset:256          // 000000004CF4: DD348100 00086C06
	s_mov_b64 exec, s[16:17]                                   // 000000004CFC: BEFE0110
	v_mov_b32_e32 v6, v71                                      // 000000004D00: 7E0C0347
	s_mov_b64 s[52:53], 0                                      // 000000004D04: BEB40180
	v_readlane_b32 s72, v3, 14                                 // 000000004D08: D2890048 00011D03
	s_cmp_lt_u32 s72, s62                                      // 000000004D10: BF0A3E48
	s_cselect_b32 s20, s16, s52                                // 000000004D14: 85143410
	v_readlane_b32 s72, v3, 15                                 // 000000004D18: D2890048 00011F03
	s_cmp_lt_u32 s72, s62                                      // 000000004D20: BF0A3E48
	s_cselect_b32 s21, s16, s52                                // 000000004D24: 85153410
	s_mov_b64 exec, s[20:21]                                   // 000000004D28: BEFE0114
	global_atomic_add_f32 v6, v105, s[8:9]                     // 000000004D2C: DD348000 00086906
	global_atomic_add_f32 v6, v109, s[8:9] offset:256          // 000000004D34: DD348100 00086D06
	s_mov_b64 exec, s[16:17]                                   // 000000004D3C: BEFE0110
	ds_write_b64 v16, v[82:83]                                 // 000000004D40: D89A0000 00005210
	ds_write_b64 v16, v[86:87] offset:4352                     // 000000004D48: D89A1100 00005610
	ds_write_b64 v16, v[90:91] offset:8704                     // 000000004D50: D89A2200 00005A10
	ds_write_b64 v16, v[94:95] offset:13056                    // 000000004D58: D89A3300 00005E10
	ds_write_b64 v16, v[98:99] offset:2176                     // 000000004D60: D89A0880 00006210
	ds_write_b64 v16, v[102:103] offset:6528                   // 000000004D68: D89A1980 00006610
	ds_write_b64 v16, v[106:107] offset:10880                  // 000000004D70: D89A2A80 00006A10
	ds_write_b64 v16, v[110:111] offset:15232                  // 000000004D78: D89A3B80 00006E10
	s_waitcnt lgkmcnt(0)                                       // 000000004D80: BF8CC07F
	s_barrier                                                  // 000000004D84: BF8A0000
	ds_read_b32 v82, v17                                       // 000000004D88: D86C0000 52000011
	ds_read_b32 v83, v17 offset:64                             // 000000004D90: D86C0040 53000011
	ds_read_b32 v86, v17 offset:2176                           // 000000004D98: D86C0880 56000011
	ds_read_b32 v87, v17 offset:2240                           // 000000004DA0: D86C08C0 57000011
	ds_read_b32 v90, v17 offset:4352                           // 000000004DA8: D86C1100 5A000011
	ds_read_b32 v91, v17 offset:4416                           // 000000004DB0: D86C1140 5B000011
	ds_read_b32 v94, v17 offset:6528                           // 000000004DB8: D86C1980 5E000011
	ds_read_b32 v95, v17 offset:6592                           // 000000004DC0: D86C19C0 5F000011
	ds_read_b32 v98, v17 offset:8704                           // 000000004DC8: D86C2200 62000011
	ds_read_b32 v99, v17 offset:8768                           // 000000004DD0: D86C2240 63000011
	ds_read_b32 v102, v17 offset:10880                         // 000000004DD8: D86C2A80 66000011
	ds_read_b32 v103, v17 offset:10944                         // 000000004DE0: D86C2AC0 67000011
	ds_read_b32 v106, v17 offset:13056                         // 000000004DE8: D86C3300 6A000011
	ds_read_b32 v107, v17 offset:13120                         // 000000004DF0: D86C3340 6B000011
	ds_read_b32 v110, v17 offset:15232                         // 000000004DF8: D86C3B80 6E000011
	ds_read_b32 v111, v17 offset:15296                         // 000000004E00: D86C3BC0 6F000011
	s_waitcnt lgkmcnt(0)                                       // 000000004E08: BF8CC07F
	v_mov_b32_e32 v7, 0                                        // 000000004E0C: 7E0E0280
	s_mov_b64 exec, s[16:17]                                   // 000000004E10: BEFE0110
	v_mov_b32_e32 v6, v64                                      // 000000004E14: 7E0C0340
	s_mov_b64 s[52:53], 0                                      // 000000004E18: BEB40180
	v_readlane_b32 s72, v3, 0                                  // 000000004E1C: D2890048 00010103
	s_cmp_lt_u32 s72, s62                                      // 000000004E24: BF0A3E48
	s_cselect_b32 s20, s16, s52                                // 000000004E28: 85143410
	v_readlane_b32 s72, v3, 1                                  // 000000004E2C: D2890048 00010303
	s_cmp_lt_u32 s72, s62                                      // 000000004E34: BF0A3E48
	s_cselect_b32 s21, s16, s52                                // 000000004E38: 85153410
	s_mov_b64 exec, s[20:21]                                   // 000000004E3C: BEFE0114
	global_atomic_add_f32 v6, v82, s[8:9] offset:8             // 000000004E40: DD348008 00085206
	global_atomic_add_f32 v6, v86, s[8:9] offset:264           // 000000004E48: DD348108 00085606
	s_mov_b64 exec, s[16:17]                                   // 000000004E50: BEFE0110
	v_mov_b32_e32 v6, v65                                      // 000000004E54: 7E0C0341
	s_mov_b64 s[52:53], 0                                      // 000000004E58: BEB40180
	v_readlane_b32 s72, v3, 2                                  // 000000004E5C: D2890048 00010503
	s_cmp_lt_u32 s72, s62                                      // 000000004E64: BF0A3E48
	s_cselect_b32 s20, s16, s52                                // 000000004E68: 85143410
	v_readlane_b32 s72, v3, 3                                  // 000000004E6C: D2890048 00010703
	s_cmp_lt_u32 s72, s62                                      // 000000004E74: BF0A3E48
	s_cselect_b32 s21, s16, s52                                // 000000004E78: 85153410
	s_mov_b64 exec, s[20:21]                                   // 000000004E7C: BEFE0114
	global_atomic_add_f32 v6, v83, s[8:9] offset:8             // 000000004E80: DD348008 00085306
	global_atomic_add_f32 v6, v87, s[8:9] offset:264           // 000000004E88: DD348108 00085706
	s_mov_b64 exec, s[16:17]                                   // 000000004E90: BEFE0110
	v_mov_b32_e32 v6, v66                                      // 000000004E94: 7E0C0342
	s_mov_b64 s[52:53], 0                                      // 000000004E98: BEB40180
	v_readlane_b32 s72, v3, 4                                  // 000000004E9C: D2890048 00010903
	s_cmp_lt_u32 s72, s62                                      // 000000004EA4: BF0A3E48
	s_cselect_b32 s20, s16, s52                                // 000000004EA8: 85143410
	v_readlane_b32 s72, v3, 5                                  // 000000004EAC: D2890048 00010B03
	s_cmp_lt_u32 s72, s62                                      // 000000004EB4: BF0A3E48
	s_cselect_b32 s21, s16, s52                                // 000000004EB8: 85153410
	s_mov_b64 exec, s[20:21]                                   // 000000004EBC: BEFE0114
	global_atomic_add_f32 v6, v90, s[8:9] offset:8             // 000000004EC0: DD348008 00085A06
	global_atomic_add_f32 v6, v94, s[8:9] offset:264           // 000000004EC8: DD348108 00085E06
	s_mov_b64 exec, s[16:17]                                   // 000000004ED0: BEFE0110
	v_mov_b32_e32 v6, v67                                      // 000000004ED4: 7E0C0343
	s_mov_b64 s[52:53], 0                                      // 000000004ED8: BEB40180
	v_readlane_b32 s72, v3, 6                                  // 000000004EDC: D2890048 00010D03
	s_cmp_lt_u32 s72, s62                                      // 000000004EE4: BF0A3E48
	s_cselect_b32 s20, s16, s52                                // 000000004EE8: 85143410
	v_readlane_b32 s72, v3, 7                                  // 000000004EEC: D2890048 00010F03
	s_cmp_lt_u32 s72, s62                                      // 000000004EF4: BF0A3E48
	s_cselect_b32 s21, s16, s52                                // 000000004EF8: 85153410
	s_mov_b64 exec, s[20:21]                                   // 000000004EFC: BEFE0114
	global_atomic_add_f32 v6, v91, s[8:9] offset:8             // 000000004F00: DD348008 00085B06
	global_atomic_add_f32 v6, v95, s[8:9] offset:264           // 000000004F08: DD348108 00085F06
	s_mov_b64 exec, s[16:17]                                   // 000000004F10: BEFE0110
	v_mov_b32_e32 v6, v68                                      // 000000004F14: 7E0C0344
	s_mov_b64 s[52:53], 0                                      // 000000004F18: BEB40180
	v_readlane_b32 s72, v3, 8                                  // 000000004F1C: D2890048 00011103
	s_cmp_lt_u32 s72, s62                                      // 000000004F24: BF0A3E48
	s_cselect_b32 s20, s16, s52                                // 000000004F28: 85143410
	v_readlane_b32 s72, v3, 9                                  // 000000004F2C: D2890048 00011303
	s_cmp_lt_u32 s72, s62                                      // 000000004F34: BF0A3E48
	s_cselect_b32 s21, s16, s52                                // 000000004F38: 85153410
	s_mov_b64 exec, s[20:21]                                   // 000000004F3C: BEFE0114
	global_atomic_add_f32 v6, v98, s[8:9] offset:8             // 000000004F40: DD348008 00086206
	global_atomic_add_f32 v6, v102, s[8:9] offset:264          // 000000004F48: DD348108 00086606
	s_mov_b64 exec, s[16:17]                                   // 000000004F50: BEFE0110
	v_mov_b32_e32 v6, v69                                      // 000000004F54: 7E0C0345
	s_mov_b64 s[52:53], 0                                      // 000000004F58: BEB40180
	v_readlane_b32 s72, v3, 10                                 // 000000004F5C: D2890048 00011503
	s_cmp_lt_u32 s72, s62                                      // 000000004F64: BF0A3E48
	s_cselect_b32 s20, s16, s52                                // 000000004F68: 85143410
	v_readlane_b32 s72, v3, 11                                 // 000000004F6C: D2890048 00011703
	s_cmp_lt_u32 s72, s62                                      // 000000004F74: BF0A3E48
	s_cselect_b32 s21, s16, s52                                // 000000004F78: 85153410
	s_mov_b64 exec, s[20:21]                                   // 000000004F7C: BEFE0114
	global_atomic_add_f32 v6, v99, s[8:9] offset:8             // 000000004F80: DD348008 00086306
	global_atomic_add_f32 v6, v103, s[8:9] offset:264          // 000000004F88: DD348108 00086706
	s_mov_b64 exec, s[16:17]                                   // 000000004F90: BEFE0110
	v_mov_b32_e32 v6, v70                                      // 000000004F94: 7E0C0346
	s_mov_b64 s[52:53], 0                                      // 000000004F98: BEB40180
	v_readlane_b32 s72, v3, 12                                 // 000000004F9C: D2890048 00011903
	s_cmp_lt_u32 s72, s62                                      // 000000004FA4: BF0A3E48
	s_cselect_b32 s20, s16, s52                                // 000000004FA8: 85143410
	v_readlane_b32 s72, v3, 13                                 // 000000004FAC: D2890048 00011B03
	s_cmp_lt_u32 s72, s62                                      // 000000004FB4: BF0A3E48
	s_cselect_b32 s21, s16, s52                                // 000000004FB8: 85153410
	s_mov_b64 exec, s[20:21]                                   // 000000004FBC: BEFE0114
	global_atomic_add_f32 v6, v106, s[8:9] offset:8            // 000000004FC0: DD348008 00086A06
	global_atomic_add_f32 v6, v110, s[8:9] offset:264          // 000000004FC8: DD348108 00086E06
	s_mov_b64 exec, s[16:17]                                   // 000000004FD0: BEFE0110
	v_mov_b32_e32 v6, v71                                      // 000000004FD4: 7E0C0347
	s_mov_b64 s[52:53], 0                                      // 000000004FD8: BEB40180
	v_readlane_b32 s72, v3, 14                                 // 000000004FDC: D2890048 00011D03
	s_cmp_lt_u32 s72, s62                                      // 000000004FE4: BF0A3E48
	s_cselect_b32 s20, s16, s52                                // 000000004FE8: 85143410
	v_readlane_b32 s72, v3, 15                                 // 000000004FEC: D2890048 00011F03
	s_cmp_lt_u32 s72, s62                                      // 000000004FF4: BF0A3E48
	s_cselect_b32 s21, s16, s52                                // 000000004FF8: 85153410
	s_mov_b64 exec, s[20:21]                                   // 000000004FFC: BEFE0114
	global_atomic_add_f32 v6, v107, s[8:9] offset:8            // 000000005000: DD348008 00086B06
	global_atomic_add_f32 v6, v111, s[8:9] offset:264          // 000000005008: DD348108 00086F06
	s_mov_b64 exec, s[16:17]                                   // 000000005010: BEFE0110
	s_branch label_117A                                        // 000000005014: BF8207B1

0000000000005018 <label_09C9>:
	s_waitcnt vmcnt(2) lgkmcnt(0)                              // 000000005018: BF8C0072
	s_barrier                                                  // 00000000501C: BF8A0000
	v_mov_b32_e32 v36, v28                                     // 000000005020: 7E48031C
	v_mov_b32_e32 v37, v29                                     // 000000005024: 7E4A031D
	v_mov_b32_e32 v38, v30                                     // 000000005028: 7E4C031E
	v_mov_b32_e32 v39, v31                                     // 00000000502C: 7E4E031F
	v_mul_f32_dpp v4, v20, v36 row_newbcast:0 row_mask:0xf bank_mask:0xf// 000000005030: 0A0848FA FF015014
	v_mfma_f32_16x16x128_f8f6f4 v[8:11], a[64:71], a[0:7], 0   // 000000005038: D3AD0008 1A020140
	buffer_load_dword v23, v19, s[32:35], 0 offen              // 000000005040: E0501000 80081713
	buffer_load_dwordx4 a[80:83], v42, s[76:79], 0 offen       // 000000005048: E05C1000 8093502A
	v_mul_f32_dpp v6, v20, v37 row_newbcast:0 row_mask:0xf bank_mask:0xf// 000000005050: 0A0C4AFA FF015014
	v_mfma_f32_16x16x128_f8f6f4 v[12:15], a[64:71], a[8:15], 0 // 000000005058: D3AD000C 1A021140
	s_nop 5                                                    // 000000005060: BF800005
	v_fma_f32 v48, v8, v4, v48                                 // 000000005064: D1CB0030 04C20908
	v_fma_f32 v49, v9, v4, v49                                 // 00000000506C: D1CB0031 04C60909
	v_fma_f32 v50, v10, v4, v50                                // 000000005074: D1CB0032 04CA090A
	v_fma_f32 v51, v11, v4, v51                                // 00000000507C: D1CB0033 04CE090B
	v_mul_f32_dpp v4, v20, v38 row_newbcast:0 row_mask:0xf bank_mask:0xf// 000000005084: 0A084CFA FF015014
	v_mfma_f32_16x16x128_f8f6f4 v[8:11], a[64:71], a[16:23], 0 // 00000000508C: D3AD0008 1A022140
	buffer_load_dwordx4 a[84:87], v42, s[76:79], 0 offen offset:1024// 000000005094: E05C1400 8093542A
	s_nop 5                                                    // 00000000509C: BF800005
	v_fma_f32 v52, v12, v6, v52                                // 0000000050A0: D1CB0034 04D20D0C
	v_fma_f32 v53, v13, v6, v53                                // 0000000050A8: D1CB0035 04D60D0D
	v_fma_f32 v54, v14, v6, v54                                // 0000000050B0: D1CB0036 04DA0D0E
	v_fma_f32 v55, v15, v6, v55                                // 0000000050B8: D1CB0037 04DE0D0F
	v_mul_f32_dpp v6, v20, v39 row_newbcast:0 row_mask:0xf bank_mask:0xf// 0000000050C0: 0A0C4EFA FF015014
	v_mfma_f32_16x16x128_f8f6f4 v[12:15], a[64:71], a[24:31], 0// 0000000050C8: D3AD000C 1A023140
	s_nop 5                                                    // 0000000050D0: BF800005
	v_fma_f32 v56, v8, v4, v56                                 // 0000000050D4: D1CB0038 04E20908
	v_fma_f32 v57, v9, v4, v57                                 // 0000000050DC: D1CB0039 04E60909
	v_fma_f32 v58, v10, v4, v58                                // 0000000050E4: D1CB003A 04EA090A
	v_fma_f32 v59, v11, v4, v59                                // 0000000050EC: D1CB003B 04EE090B
	s_waitcnt vmcnt(3)                                         // 0000000050F4: BF8C0F73
	v_mul_f32_dpp v4, v20, v36 row_newbcast:0 row_mask:0xf bank_mask:0xf// 0000000050F8: 0A0848FA FF015014
	v_mfma_f32_16x16x128_f8f6f4 v[8:11], a[72:79], a[0:7], 0   // 000000005100: D3AD0008 1A020148
	buffer_load_dwordx4 a[88:91], v43, s[76:79], 0 offen       // 000000005108: E05C1000 8093582B
	s_nop 5                                                    // 000000005110: BF800005
	v_fma_f32 v60, v12, v6, v60                                // 000000005114: D1CB003C 04F20D0C
	v_fma_f32 v61, v13, v6, v61                                // 00000000511C: D1CB003D 04F60D0D
	v_fma_f32 v62, v14, v6, v62                                // 000000005124: D1CB003E 04FA0D0E
	v_fma_f32 v63, v15, v6, v63                                // 00000000512C: D1CB003F 04FE0D0F
	v_mul_f32_dpp v6, v20, v37 row_newbcast:0 row_mask:0xf bank_mask:0xf// 000000005134: 0A0C4AFA FF015014
	v_mfma_f32_16x16x128_f8f6f4 v[12:15], a[72:79], a[8:15], 0 // 00000000513C: D3AD000C 1A021148
	s_nop 5                                                    // 000000005144: BF800005
	v_fma_f32 v64, v8, v4, v64                                 // 000000005148: D1CB0040 05020908
	v_fma_f32 v65, v9, v4, v65                                 // 000000005150: D1CB0041 05060909
	v_fma_f32 v66, v10, v4, v66                                // 000000005158: D1CB0042 050A090A
	v_fma_f32 v67, v11, v4, v67                                // 000000005160: D1CB0043 050E090B
	v_mul_f32_dpp v4, v20, v38 row_newbcast:0 row_mask:0xf bank_mask:0xf// 000000005168: 0A084CFA FF015014
	v_mfma_f32_16x16x128_f8f6f4 v[8:11], a[72:79], a[16:23], 0 // 000000005170: D3AD0008 1A022148
	buffer_load_dwordx4 a[92:95], v43, s[76:79], 0 offen offset:1024// 000000005178: E05C1400 80935C2B
	s_add_u32 s52, 0x80, s70                                   // 000000005180: 803446FF 00000080
	s_cmp_lt_u32 s52, s71                                      // 000000005188: BF0A4734
	s_cselect_b32 s73, s73, 0                                  // 00000000518C: 85498049
	s_cselect_b32 s4, s4, 0                                    // 000000005190: 85048004
	s_nop 5                                                    // 000000005194: BF800005
	v_fma_f32 v68, v12, v6, v68                                // 000000005198: D1CB0044 05120D0C
	v_fma_f32 v69, v13, v6, v69                                // 0000000051A0: D1CB0045 05160D0D
	v_fma_f32 v70, v14, v6, v70                                // 0000000051A8: D1CB0046 051A0D0E
	v_fma_f32 v71, v15, v6, v71                                // 0000000051B0: D1CB0047 051E0D0F
	v_mul_f32_dpp v6, v20, v39 row_newbcast:0 row_mask:0xf bank_mask:0xf// 0000000051B8: 0A0C4EFA FF015014
	v_mfma_f32_16x16x128_f8f6f4 v[12:15], a[72:79], a[24:31], 0// 0000000051C0: D3AD000C 1A023148
	s_add_u32 s32, s4, s32                                     // 0000000051C8: 80202004
	s_addc_u32 s33, 0, s33                                     // 0000000051CC: 82212180
	s_nop 5                                                    // 0000000051D0: BF800005
	v_fma_f32 v72, v8, v4, v72                                 // 0000000051D4: D1CB0048 05220908
	v_fma_f32 v73, v9, v4, v73                                 // 0000000051DC: D1CB0049 05260909
	v_fma_f32 v74, v10, v4, v74                                // 0000000051E4: D1CB004A 052A090A
	v_fma_f32 v75, v11, v4, v75                                // 0000000051EC: D1CB004B 052E090B
	s_nop 5                                                    // 0000000051F4: BF800005
	v_fma_f32 v76, v12, v6, v76                                // 0000000051F8: D1CB004C 05320D0C
	v_fma_f32 v77, v13, v6, v77                                // 000000005200: D1CB004D 05360D0D
	v_fma_f32 v78, v14, v6, v78                                // 000000005208: D1CB004E 053A0D0E
	v_fma_f32 v79, v15, v6, v79                                // 000000005210: D1CB004F 053E0D0F
	buffer_load_dwordx4 v40, s[20:23], 0 offen lds             // 000000005218: E05D1000 80050028
	s_add_u32 m0, 0x400, s46                                   // 000000005220: 807C2EFF 00000400
	buffer_load_dwordx4 v41, s[20:23], 0 offen lds             // 000000005228: E05D1000 80050029
	s_add_u32 m0, 0, s47                                       // 000000005230: 807C2F80
	buffer_load_dword v28, v24, s[28:31], 0 offen              // 000000005234: E0501000 80071C18
	buffer_load_dword v29, v25, s[28:31], 0 offen              // 00000000523C: E0501000 80071D19
	buffer_load_dword v30, v26, s[28:31], 0 offen              // 000000005244: E0501000 80071E1A
	buffer_load_dword v31, v27, s[28:31], 0 offen              // 00000000524C: E0501000 80071F1B
	s_waitcnt vmcnt(6)                                         // 000000005254: BF8C0F76
	v_mul_f32_dpp v4, v23, v36 row_newbcast:0 row_mask:0xf bank_mask:0xf// 000000005258: 0A0848FA FF015017
	v_mfma_f32_16x16x128_f8f6f4 v[8:11], a[80:87], a[0:7], 0   // 000000005260: D3AD0008 1A020150
	buffer_load_dword v20, v18, s[32:35], 0 offen              // 000000005268: E0501000 80081412
	buffer_load_dwordx4 a[64:67], v42, s[24:27], 0 offen       // 000000005270: E05C1000 8086402A
	v_mfma_f32_16x16x128_f8f6f4 v[12:15], a[88:95], a[0:7], 0  // 000000005278: D3AD000C 1A020158
	ds_read_b128 a[32:35], v2 offset:8320                      // 000000005280: DBFE2080 20000002
	ds_read_b128 a[36:39], v2 offset:8384                      // 000000005288: DBFE20C0 24000002
	s_nop 5                                                    // 000000005290: BF800005
	v_fma_f32 v80, v8, v4, v80                                 // 000000005294: D1CB0050 05420908
	v_fma_f32 v81, v9, v4, v81                                 // 00000000529C: D1CB0051 05460909
	v_fma_f32 v82, v10, v4, v82                                // 0000000052A4: D1CB0052 054A090A
	v_fma_f32 v83, v11, v4, v83                                // 0000000052AC: D1CB0053 054E090B
	v_mul_f32_dpp v6, v23, v37 row_newbcast:0 row_mask:0xf bank_mask:0xf// 0000000052B4: 0A0C4AFA FF015017
	v_mfma_f32_16x16x128_f8f6f4 v[8:11], a[80:87], a[8:15], 0  // 0000000052BC: D3AD0008 1A021150
	buffer_load_dwordx4 a[68:71], v42, s[24:27], 0 offen offset:1024// 0000000052C4: E05C1400 8086442A
	s_nop 5                                                    // 0000000052CC: BF800005
	v_fma_f32 v96, v12, v4, v96                                // 0000000052D0: D1CB0060 0582090C
	v_fma_f32 v97, v13, v4, v97                                // 0000000052D8: D1CB0061 0586090D
	v_fma_f32 v98, v14, v4, v98                                // 0000000052E0: D1CB0062 058A090E
	v_fma_f32 v99, v15, v4, v99                                // 0000000052E8: D1CB0063 058E090F
	v_mfma_f32_16x16x128_f8f6f4 v[12:15], a[88:95], a[8:15], 0 // 0000000052F0: D3AD000C 1A021158
	ds_read_b128 a[40:43], v2 offset:8832                      // 0000000052F8: DBFE2280 28000002
	ds_read_b128 a[44:47], v2 offset:8896                      // 000000005300: DBFE22C0 2C000002
	s_add_u32 s52, 0x100, s70                                  // 000000005308: 803446FF 00000100
	s_cmp_lt_u32 s52, s71                                      // 000000005310: BF0A4734
	s_cselect_b32 s58, s58, 0                                  // 000000005314: 853A803A
	s_nop 5                                                    // 000000005318: BF800005
	v_fma_f32 v84, v8, v6, v84                                 // 00000000531C: D1CB0054 05520D08
	v_fma_f32 v85, v9, v6, v85                                 // 000000005324: D1CB0055 05560D09
	v_fma_f32 v86, v10, v6, v86                                // 00000000532C: D1CB0056 055A0D0A
	v_fma_f32 v87, v11, v6, v87                                // 000000005334: D1CB0057 055E0D0B
	v_mul_f32_dpp v4, v23, v38 row_newbcast:0 row_mask:0xf bank_mask:0xf// 00000000533C: 0A084CFA FF015017
	v_mfma_f32_16x16x128_f8f6f4 v[8:11], a[80:87], a[16:23], 0 // 000000005344: D3AD0008 1A022150
	buffer_load_dwordx4 a[72:75], v43, s[24:27], 0 offen       // 00000000534C: E05C1000 8086482B
	s_add_u32 s76, s73, s24                                    // 000000005354: 804C1849
	s_addc_u32 s77, 0, s77                                     // 000000005358: 824D4D80
	s_nop 5                                                    // 00000000535C: BF800005
	v_fma_f32 v100, v12, v6, v100                              // 000000005360: D1CB0064 05920D0C
	v_fma_f32 v101, v13, v6, v101                              // 000000005368: D1CB0065 05960D0D
	v_fma_f32 v102, v14, v6, v102                              // 000000005370: D1CB0066 059A0D0E
	v_fma_f32 v103, v15, v6, v103                              // 000000005378: D1CB0067 059E0D0F
	v_mfma_f32_16x16x128_f8f6f4 v[12:15], a[88:95], a[16:23], 0// 000000005380: D3AD000C 1A022158
	ds_read_b128 a[48:51], v2 offset:9344                      // 000000005388: DBFE2480 30000002
	ds_read_b128 a[52:55], v2 offset:9408                      // 000000005390: DBFE24C0 34000002
	s_add_u32 s52, 0x180, s70                                  // 000000005398: 803446FF 00000180
	s_cmp_lt_u32 s52, s71                                      // 0000000053A0: BF0A4734
	s_cselect_b32 s57, s57, 0                                  // 0000000053A4: 85398039
	s_cselect_b32 s6, s6, 0                                    // 0000000053A8: 85068006
	s_nop 5                                                    // 0000000053AC: BF800005
	v_fma_f32 v88, v8, v4, v88                                 // 0000000053B0: D1CB0058 05620908
	v_fma_f32 v89, v9, v4, v89                                 // 0000000053B8: D1CB0059 05660909
	v_fma_f32 v90, v10, v4, v90                                // 0000000053C0: D1CB005A 056A090A
	v_fma_f32 v91, v11, v4, v91                                // 0000000053C8: D1CB005B 056E090B
	v_mul_f32_dpp v6, v23, v39 row_newbcast:0 row_mask:0xf bank_mask:0xf// 0000000053D0: 0A0C4EFA FF015017
	v_mfma_f32_16x16x128_f8f6f4 v[8:11], a[80:87], a[24:31], 0 // 0000000053D8: D3AD0008 1A023150
	buffer_load_dwordx4 a[76:79], v43, s[24:27], 0 offen offset:1024// 0000000053E0: E05C1400 80864C2B
	s_add_u32 s20, s57, s20                                    // 0000000053E8: 80141439
	s_addc_u32 s21, 0, s21                                     // 0000000053EC: 82151580
	s_add_u32 s28, s6, s28                                     // 0000000053F0: 801C1C06
	s_addc_u32 s29, 0, s29                                     // 0000000053F4: 821D1D80
	s_nop 5                                                    // 0000000053F8: BF800005
	v_fma_f32 v104, v12, v4, v104                              // 0000000053FC: D1CB0068 05A2090C
	v_fma_f32 v105, v13, v4, v105                              // 000000005404: D1CB0069 05A6090D
	v_fma_f32 v106, v14, v4, v106                              // 00000000540C: D1CB006A 05AA090E
	v_fma_f32 v107, v15, v4, v107                              // 000000005414: D1CB006B 05AE090F
	v_mfma_f32_16x16x128_f8f6f4 v[12:15], a[88:95], a[24:31], 0// 00000000541C: D3AD000C 1A023158
	ds_read_b128 a[56:59], v2 offset:9856                      // 000000005424: DBFE2680 38000002
	ds_read_b128 a[60:63], v2 offset:9920                      // 00000000542C: DBFE26C0 3C000002
	s_add_u32 s24, s58, s24                                    // 000000005434: 8018183A
	s_addc_u32 s25, 0, s25                                     // 000000005438: 82191980
	s_nop 5                                                    // 00000000543C: BF800005
	v_fma_f32 v92, v8, v6, v92                                 // 000000005440: D1CB005C 05720D08
	v_fma_f32 v93, v9, v6, v93                                 // 000000005448: D1CB005D 05760D09
	v_fma_f32 v94, v10, v6, v94                                // 000000005450: D1CB005E 057A0D0A
	v_fma_f32 v95, v11, v6, v95                                // 000000005458: D1CB005F 057E0D0B
	s_nop 5                                                    // 000000005460: BF800005
	v_fma_f32 v108, v12, v6, v108                              // 000000005464: D1CB006C 05B20D0C
	v_fma_f32 v109, v13, v6, v109                              // 00000000546C: D1CB006D 05B60D0D
	v_fma_f32 v110, v14, v6, v110                              // 000000005474: D1CB006E 05BA0D0E
	v_fma_f32 v111, v15, v6, v111                              // 00000000547C: D1CB006F 05BE0D0F
	s_addk_i32 s70, 0x80                                       // 000000005484: B7460080
	s_cmp_lt_i32 s70, s71                                      // 000000005488: BF044746
	s_cbranch_scc0 label_0C06                                  // 00000000548C: BF84011F
	s_waitcnt vmcnt(2) lgkmcnt(0)                              // 000000005490: BF8C0072
	s_barrier                                                  // 000000005494: BF8A0000
	v_mov_b32_e32 v36, v32                                     // 000000005498: 7E480320
	v_mov_b32_e32 v37, v33                                     // 00000000549C: 7E4A0321
	v_mov_b32_e32 v38, v34                                     // 0000000054A0: 7E4C0322
	v_mov_b32_e32 v39, v35                                     // 0000000054A4: 7E4E0323
	v_mul_f32_dpp v4, v20, v36 row_newbcast:0 row_mask:0xf bank_mask:0xf// 0000000054A8: 0A0848FA FF015014
	v_mfma_f32_16x16x128_f8f6f4 v[8:11], a[64:71], a[32:39], 0 // 0000000054B0: D3AD0008 1A024140
	buffer_load_dword v23, v19, s[32:35], 0 offen              // 0000000054B8: E0501000 80081713
	buffer_load_dwordx4 a[80:83], v42, s[76:79], 0 offen       // 0000000054C0: E05C1000 8093502A
	v_mul_f32_dpp v6, v20, v37 row_newbcast:0 row_mask:0xf bank_mask:0xf// 0000000054C8: 0A0C4AFA FF015014
	v_mfma_f32_16x16x128_f8f6f4 v[12:15], a[64:71], a[40:47], 0// 0000000054D0: D3AD000C 1A025140
	s_nop 5                                                    // 0000000054D8: BF800005
	v_fma_f32 v48, v8, v4, v48                                 // 0000000054DC: D1CB0030 04C20908
	v_fma_f32 v49, v9, v4, v49                                 // 0000000054E4: D1CB0031 04C60909
	v_fma_f32 v50, v10, v4, v50                                // 0000000054EC: D1CB0032 04CA090A
	v_fma_f32 v51, v11, v4, v51                                // 0000000054F4: D1CB0033 04CE090B
	v_mul_f32_dpp v4, v20, v38 row_newbcast:0 row_mask:0xf bank_mask:0xf// 0000000054FC: 0A084CFA FF015014
	v_mfma_f32_16x16x128_f8f6f4 v[8:11], a[64:71], a[48:55], 0 // 000000005504: D3AD0008 1A026140
	buffer_load_dwordx4 a[84:87], v42, s[76:79], 0 offen offset:1024// 00000000550C: E05C1400 8093542A
	s_nop 5                                                    // 000000005514: BF800005
	v_fma_f32 v52, v12, v6, v52                                // 000000005518: D1CB0034 04D20D0C
	v_fma_f32 v53, v13, v6, v53                                // 000000005520: D1CB0035 04D60D0D
	v_fma_f32 v54, v14, v6, v54                                // 000000005528: D1CB0036 04DA0D0E
	v_fma_f32 v55, v15, v6, v55                                // 000000005530: D1CB0037 04DE0D0F
	v_mul_f32_dpp v6, v20, v39 row_newbcast:0 row_mask:0xf bank_mask:0xf// 000000005538: 0A0C4EFA FF015014
	v_mfma_f32_16x16x128_f8f6f4 v[12:15], a[64:71], a[56:63], 0// 000000005540: D3AD000C 1A027140
	s_nop 5                                                    // 000000005548: BF800005
	v_fma_f32 v56, v8, v4, v56                                 // 00000000554C: D1CB0038 04E20908
	v_fma_f32 v57, v9, v4, v57                                 // 000000005554: D1CB0039 04E60909
	v_fma_f32 v58, v10, v4, v58                                // 00000000555C: D1CB003A 04EA090A
	v_fma_f32 v59, v11, v4, v59                                // 000000005564: D1CB003B 04EE090B
	s_waitcnt vmcnt(3)                                         // 00000000556C: BF8C0F73
	v_mul_f32_dpp v4, v20, v36 row_newbcast:0 row_mask:0xf bank_mask:0xf// 000000005570: 0A0848FA FF015014
	v_mfma_f32_16x16x128_f8f6f4 v[8:11], a[72:79], a[32:39], 0 // 000000005578: D3AD0008 1A024148
	buffer_load_dwordx4 a[88:91], v43, s[76:79], 0 offen       // 000000005580: E05C1000 8093582B
	s_nop 5                                                    // 000000005588: BF800005
	v_fma_f32 v60, v12, v6, v60                                // 00000000558C: D1CB003C 04F20D0C
	v_fma_f32 v61, v13, v6, v61                                // 000000005594: D1CB003D 04F60D0D
	v_fma_f32 v62, v14, v6, v62                                // 00000000559C: D1CB003E 04FA0D0E
	v_fma_f32 v63, v15, v6, v63                                // 0000000055A4: D1CB003F 04FE0D0F
	v_mul_f32_dpp v6, v20, v37 row_newbcast:0 row_mask:0xf bank_mask:0xf// 0000000055AC: 0A0C4AFA FF015014
	v_mfma_f32_16x16x128_f8f6f4 v[12:15], a[72:79], a[40:47], 0// 0000000055B4: D3AD000C 1A025148
	s_nop 5                                                    // 0000000055BC: BF800005
	v_fma_f32 v64, v8, v4, v64                                 // 0000000055C0: D1CB0040 05020908
	v_fma_f32 v65, v9, v4, v65                                 // 0000000055C8: D1CB0041 05060909
	v_fma_f32 v66, v10, v4, v66                                // 0000000055D0: D1CB0042 050A090A
	v_fma_f32 v67, v11, v4, v67                                // 0000000055D8: D1CB0043 050E090B
	v_mul_f32_dpp v4, v20, v38 row_newbcast:0 row_mask:0xf bank_mask:0xf// 0000000055E0: 0A084CFA FF015014
	v_mfma_f32_16x16x128_f8f6f4 v[8:11], a[72:79], a[48:55], 0 // 0000000055E8: D3AD0008 1A026148
	buffer_load_dwordx4 a[92:95], v43, s[76:79], 0 offen offset:1024// 0000000055F0: E05C1400 80935C2B
	s_add_u32 s52, 0x80, s70                                   // 0000000055F8: 803446FF 00000080
	s_cmp_lt_u32 s52, s71                                      // 000000005600: BF0A4734
	s_cselect_b32 s73, s73, 0                                  // 000000005604: 85498049
	s_cselect_b32 s4, s4, 0                                    // 000000005608: 85048004
	s_nop 5                                                    // 00000000560C: BF800005
	v_fma_f32 v68, v12, v6, v68                                // 000000005610: D1CB0044 05120D0C
	v_fma_f32 v69, v13, v6, v69                                // 000000005618: D1CB0045 05160D0D
	v_fma_f32 v70, v14, v6, v70                                // 000000005620: D1CB0046 051A0D0E
	v_fma_f32 v71, v15, v6, v71                                // 000000005628: D1CB0047 051E0D0F
	v_mul_f32_dpp v6, v20, v39 row_newbcast:0 row_mask:0xf bank_mask:0xf// 000000005630: 0A0C4EFA FF015014
	v_mfma_f32_16x16x128_f8f6f4 v[12:15], a[72:79], a[56:63], 0// 000000005638: D3AD000C 1A027148
	s_add_u32 s32, s4, s32                                     // 000000005640: 80202004
	s_addc_u32 s33, 0, s33                                     // 000000005644: 82212180
	s_nop 5                                                    // 000000005648: BF800005
	v_fma_f32 v72, v8, v4, v72                                 // 00000000564C: D1CB0048 05220908
	v_fma_f32 v73, v9, v4, v73                                 // 000000005654: D1CB0049 05260909
	v_fma_f32 v74, v10, v4, v74                                // 00000000565C: D1CB004A 052A090A
	v_fma_f32 v75, v11, v4, v75                                // 000000005664: D1CB004B 052E090B
	s_nop 5                                                    // 00000000566C: BF800005
	v_fma_f32 v76, v12, v6, v76                                // 000000005670: D1CB004C 05320D0C
	v_fma_f32 v77, v13, v6, v77                                // 000000005678: D1CB004D 05360D0D
	v_fma_f32 v78, v14, v6, v78                                // 000000005680: D1CB004E 053A0D0E
	v_fma_f32 v79, v15, v6, v79                                // 000000005688: D1CB004F 053E0D0F
	buffer_load_dwordx4 v40, s[20:23], 0 offen lds             // 000000005690: E05D1000 80050028
	s_add_u32 m0, 0x400, s47                                   // 000000005698: 807C2FFF 00000400
	buffer_load_dwordx4 v41, s[20:23], 0 offen lds             // 0000000056A0: E05D1000 80050029
	s_add_u32 m0, 0, s46                                       // 0000000056A8: 807C2E80
	buffer_load_dword v32, v24, s[28:31], 0 offen              // 0000000056AC: E0501000 80072018
	buffer_load_dword v33, v25, s[28:31], 0 offen              // 0000000056B4: E0501000 80072119
	buffer_load_dword v34, v26, s[28:31], 0 offen              // 0000000056BC: E0501000 8007221A
	buffer_load_dword v35, v27, s[28:31], 0 offen              // 0000000056C4: E0501000 8007231B
	s_waitcnt vmcnt(6)                                         // 0000000056CC: BF8C0F76
	v_mul_f32_dpp v4, v23, v36 row_newbcast:0 row_mask:0xf bank_mask:0xf// 0000000056D0: 0A0848FA FF015017
	v_mfma_f32_16x16x128_f8f6f4 v[8:11], a[80:87], a[32:39], 0 // 0000000056D8: D3AD0008 1A024150
	buffer_load_dword v20, v18, s[32:35], 0 offen              // 0000000056E0: E0501000 80081412
	buffer_load_dwordx4 a[64:67], v42, s[24:27], 0 offen       // 0000000056E8: E05C1000 8086402A
	v_mfma_f32_16x16x128_f8f6f4 v[12:15], a[88:95], a[32:39], 0// 0000000056F0: D3AD000C 1A024158
	ds_read_b128 a[0:3], v2                                    // 0000000056F8: DBFE0000 00000002
	ds_read_b128 a[4:7], v2 offset:64                          // 000000005700: DBFE0040 04000002
	s_nop 5                                                    // 000000005708: BF800005
	v_fma_f32 v80, v8, v4, v80                                 // 00000000570C: D1CB0050 05420908
	v_fma_f32 v81, v9, v4, v81                                 // 000000005714: D1CB0051 05460909
	v_fma_f32 v82, v10, v4, v82                                // 00000000571C: D1CB0052 054A090A
	v_fma_f32 v83, v11, v4, v83                                // 000000005724: D1CB0053 054E090B
	v_mul_f32_dpp v6, v23, v37 row_newbcast:0 row_mask:0xf bank_mask:0xf// 00000000572C: 0A0C4AFA FF015017
	v_mfma_f32_16x16x128_f8f6f4 v[8:11], a[80:87], a[40:47], 0 // 000000005734: D3AD0008 1A025150
	buffer_load_dwordx4 a[68:71], v42, s[24:27], 0 offen offset:1024// 00000000573C: E05C1400 8086442A
	s_nop 5                                                    // 000000005744: BF800005
	v_fma_f32 v96, v12, v4, v96                                // 000000005748: D1CB0060 0582090C
	v_fma_f32 v97, v13, v4, v97                                // 000000005750: D1CB0061 0586090D
	v_fma_f32 v98, v14, v4, v98                                // 000000005758: D1CB0062 058A090E
	v_fma_f32 v99, v15, v4, v99                                // 000000005760: D1CB0063 058E090F
	v_mfma_f32_16x16x128_f8f6f4 v[12:15], a[88:95], a[40:47], 0// 000000005768: D3AD000C 1A025158
	ds_read_b128 a[8:11], v2 offset:512                        // 000000005770: DBFE0200 08000002
	ds_read_b128 a[12:15], v2 offset:576                       // 000000005778: DBFE0240 0C000002
	s_add_u32 s52, 0x100, s70                                  // 000000005780: 803446FF 00000100
	s_cmp_lt_u32 s52, s71                                      // 000000005788: BF0A4734
	s_cselect_b32 s58, s58, 0                                  // 00000000578C: 853A803A
	s_nop 5                                                    // 000000005790: BF800005
	v_fma_f32 v84, v8, v6, v84                                 // 000000005794: D1CB0054 05520D08
	v_fma_f32 v85, v9, v6, v85                                 // 00000000579C: D1CB0055 05560D09
	v_fma_f32 v86, v10, v6, v86                                // 0000000057A4: D1CB0056 055A0D0A
	v_fma_f32 v87, v11, v6, v87                                // 0000000057AC: D1CB0057 055E0D0B
	v_mul_f32_dpp v4, v23, v38 row_newbcast:0 row_mask:0xf bank_mask:0xf// 0000000057B4: 0A084CFA FF015017
	v_mfma_f32_16x16x128_f8f6f4 v[8:11], a[80:87], a[48:55], 0 // 0000000057BC: D3AD0008 1A026150
	buffer_load_dwordx4 a[72:75], v43, s[24:27], 0 offen       // 0000000057C4: E05C1000 8086482B
	s_add_u32 s76, s73, s24                                    // 0000000057CC: 804C1849
	s_addc_u32 s77, 0, s77                                     // 0000000057D0: 824D4D80
	s_nop 5                                                    // 0000000057D4: BF800005
	v_fma_f32 v100, v12, v6, v100                              // 0000000057D8: D1CB0064 05920D0C
	v_fma_f32 v101, v13, v6, v101                              // 0000000057E0: D1CB0065 05960D0D
	v_fma_f32 v102, v14, v6, v102                              // 0000000057E8: D1CB0066 059A0D0E
	v_fma_f32 v103, v15, v6, v103                              // 0000000057F0: D1CB0067 059E0D0F
	v_mfma_f32_16x16x128_f8f6f4 v[12:15], a[88:95], a[48:55], 0// 0000000057F8: D3AD000C 1A026158
	ds_read_b128 a[16:19], v2 offset:1024                      // 000000005800: DBFE0400 10000002
	ds_read_b128 a[20:23], v2 offset:1088                      // 000000005808: DBFE0440 14000002
	s_add_u32 s52, 0x180, s70                                  // 000000005810: 803446FF 00000180
	s_cmp_lt_u32 s52, s71                                      // 000000005818: BF0A4734
	s_cselect_b32 s57, s57, 0                                  // 00000000581C: 85398039
	s_cselect_b32 s6, s6, 0                                    // 000000005820: 85068006
	s_nop 5                                                    // 000000005824: BF800005
	v_fma_f32 v88, v8, v4, v88                                 // 000000005828: D1CB0058 05620908
	v_fma_f32 v89, v9, v4, v89                                 // 000000005830: D1CB0059 05660909
	v_fma_f32 v90, v10, v4, v90                                // 000000005838: D1CB005A 056A090A
	v_fma_f32 v91, v11, v4, v91                                // 000000005840: D1CB005B 056E090B
	v_mul_f32_dpp v6, v23, v39 row_newbcast:0 row_mask:0xf bank_mask:0xf// 000000005848: 0A0C4EFA FF015017
	v_mfma_f32_16x16x128_f8f6f4 v[8:11], a[80:87], a[56:63], 0 // 000000005850: D3AD0008 1A027150
	buffer_load_dwordx4 a[76:79], v43, s[24:27], 0 offen offset:1024// 000000005858: E05C1400 80864C2B
	s_add_u32 s20, s57, s20                                    // 000000005860: 80141439
	s_addc_u32 s21, 0, s21                                     // 000000005864: 82151580
	s_add_u32 s28, s6, s28                                     // 000000005868: 801C1C06
	s_addc_u32 s29, 0, s29                                     // 00000000586C: 821D1D80
	s_nop 5                                                    // 000000005870: BF800005
	v_fma_f32 v104, v12, v4, v104                              // 000000005874: D1CB0068 05A2090C
	v_fma_f32 v105, v13, v4, v105                              // 00000000587C: D1CB0069 05A6090D
	v_fma_f32 v106, v14, v4, v106                              // 000000005884: D1CB006A 05AA090E
	v_fma_f32 v107, v15, v4, v107                              // 00000000588C: D1CB006B 05AE090F
	v_mfma_f32_16x16x128_f8f6f4 v[12:15], a[88:95], a[56:63], 0// 000000005894: D3AD000C 1A027158
	ds_read_b128 a[24:27], v2 offset:1536                      // 00000000589C: DBFE0600 18000002
	ds_read_b128 a[28:31], v2 offset:1600                      // 0000000058A4: DBFE0640 1C000002
	s_add_u32 s24, s58, s24                                    // 0000000058AC: 8018183A
	s_addc_u32 s25, 0, s25                                     // 0000000058B0: 82191980
	s_nop 5                                                    // 0000000058B4: BF800005
	v_fma_f32 v92, v8, v6, v92                                 // 0000000058B8: D1CB005C 05720D08
	v_fma_f32 v93, v9, v6, v93                                 // 0000000058C0: D1CB005D 05760D09
	v_fma_f32 v94, v10, v6, v94                                // 0000000058C8: D1CB005E 057A0D0A
	v_fma_f32 v95, v11, v6, v95                                // 0000000058D0: D1CB005F 057E0D0B
	s_nop 5                                                    // 0000000058D8: BF800005
	v_fma_f32 v108, v12, v6, v108                              // 0000000058DC: D1CB006C 05B20D0C
	v_fma_f32 v109, v13, v6, v109                              // 0000000058E4: D1CB006D 05B60D0D
	v_fma_f32 v110, v14, v6, v110                              // 0000000058EC: D1CB006E 05BA0D0E
	v_fma_f32 v111, v15, v6, v111                              // 0000000058F4: D1CB006F 05BE0D0F
	s_addk_i32 s70, 0x80                                       // 0000000058FC: B7460080
	s_cmp_lt_i32 s70, s71                                      // 000000005900: BF044746
	s_cbranch_scc0 label_0C06                                  // 000000005904: BF840001
	s_branch label_09C9                                        // 000000005908: BF82FDC3

000000000000590c <label_0C06>:
	s_cmp_eq_u32 s74, 0                                        // 00000000590C: BF06804A
	s_cbranch_scc0 label_0E30                                  // 000000005910: BF840228
	v_cvt_pk_bf16_f32 v48, v48, v49                            // 000000005914: D2680030 00026330
	v_cvt_pk_bf16_f32 v49, v50, v51                            // 00000000591C: D2680031 00026732
	v_cvt_pk_bf16_f32 v50, v52, v53                            // 000000005924: D2680032 00026B34
	v_cvt_pk_bf16_f32 v51, v54, v55                            // 00000000592C: D2680033 00026F36
	v_cvt_pk_bf16_f32 v52, v56, v57                            // 000000005934: D2680034 00027338
	v_cvt_pk_bf16_f32 v53, v58, v59                            // 00000000593C: D2680035 0002773A
	v_cvt_pk_bf16_f32 v54, v60, v61                            // 000000005944: D2680036 00027B3C
	v_cvt_pk_bf16_f32 v55, v62, v63                            // 00000000594C: D2680037 00027F3E
	v_cvt_pk_bf16_f32 v56, v64, v65                            // 000000005954: D2680038 00028340
	v_cvt_pk_bf16_f32 v57, v66, v67                            // 00000000595C: D2680039 00028742
	v_cvt_pk_bf16_f32 v58, v68, v69                            // 000000005964: D268003A 00028B44
	v_cvt_pk_bf16_f32 v59, v70, v71                            // 00000000596C: D268003B 00028F46
	v_cvt_pk_bf16_f32 v60, v72, v73                            // 000000005974: D268003C 00029348
	v_cvt_pk_bf16_f32 v61, v74, v75                            // 00000000597C: D268003D 0002974A
	v_cvt_pk_bf16_f32 v62, v76, v77                            // 000000005984: D268003E 00029B4C
	v_cvt_pk_bf16_f32 v63, v78, v79                            // 00000000598C: D268003F 00029F4E
	ds_write_b64 v16, v[48:49]                                 // 000000005994: D89A0000 00003010
	ds_write_b64 v16, v[50:51] offset:4352                     // 00000000599C: D89A1100 00003210
	ds_write_b64 v16, v[52:53] offset:8704                     // 0000000059A4: D89A2200 00003410
	ds_write_b64 v16, v[54:55] offset:13056                    // 0000000059AC: D89A3300 00003610
	ds_write_b64 v16, v[56:57] offset:2176                     // 0000000059B4: D89A0880 00003810
	ds_write_b64 v16, v[58:59] offset:6528                     // 0000000059BC: D89A1980 00003A10
	ds_write_b64 v16, v[60:61] offset:10880                    // 0000000059C4: D89A2A80 00003C10
	ds_write_b64 v16, v[62:63] offset:15232                    // 0000000059CC: D89A3B80 00003E10
	v_cvt_pk_bf16_f32 v80, v80, v81                            // 0000000059D4: D2680050 0002A350
	v_cvt_pk_bf16_f32 v81, v82, v83                            // 0000000059DC: D2680051 0002A752
	v_cvt_pk_bf16_f32 v82, v84, v85                            // 0000000059E4: D2680052 0002AB54
	v_cvt_pk_bf16_f32 v83, v86, v87                            // 0000000059EC: D2680053 0002AF56
	v_cvt_pk_bf16_f32 v84, v88, v89                            // 0000000059F4: D2680054 0002B358
	v_cvt_pk_bf16_f32 v85, v90, v91                            // 0000000059FC: D2680055 0002B75A
	v_cvt_pk_bf16_f32 v86, v92, v93                            // 000000005A04: D2680056 0002BB5C
	v_cvt_pk_bf16_f32 v87, v94, v95                            // 000000005A0C: D2680057 0002BF5E
	v_cvt_pk_bf16_f32 v88, v96, v97                            // 000000005A14: D2680058 0002C360
	v_cvt_pk_bf16_f32 v89, v98, v99                            // 000000005A1C: D2680059 0002C762
	v_cvt_pk_bf16_f32 v90, v100, v101                          // 000000005A24: D268005A 0002CB64
	v_cvt_pk_bf16_f32 v91, v102, v103                          // 000000005A2C: D268005B 0002CF66
	v_cvt_pk_bf16_f32 v92, v104, v105                          // 000000005A34: D268005C 0002D368
	v_cvt_pk_bf16_f32 v93, v106, v107                          // 000000005A3C: D268005D 0002D76A
	v_cvt_pk_bf16_f32 v94, v108, v109                          // 000000005A44: D268005E 0002DB6C
	v_cvt_pk_bf16_f32 v95, v110, v111                          // 000000005A4C: D268005F 0002DF6E
	v_lshrrev_b32_e32 v4, 5, v0                                // 000000005A54: 20080085
	v_xor_b32_e32 v5, 1, v4                                    // 000000005A58: 2A0A0881
	s_mul_i32 s52, s61, 2                                      // 000000005A5C: 9234823D
	s_cmp_eq_u32 s74, 0                                        // 000000005A60: BF06804A
	s_cselect_b32 s53, 1, 4                                    // 000000005A64: 85358481
	s_mul_i32 s52, s53, s52                                    // 000000005A68: 92343435
	v_readlane_b32 s72, v3, 0                                  // 000000005A6C: D2890048 00010103
	s_mul_i32 s72, s72, s66                                    // 000000005A74: 92484248
	v_mul_lo_u32 v6, v5, s72                                   // 000000005A78: D2850006 00009105
	v_readlane_b32 s72, v3, 1                                  // 000000005A80: D2890048 00010303
	s_mul_i32 s72, s72, s66                                    // 000000005A88: 92484248
	v_mul_lo_u32 v7, v4, s72                                   // 000000005A8C: D2850007 00009104
	v_add_u32_e32 v64, v6, v7                                  // 000000005A94: 68800F06
	v_readlane_b32 s72, v3, 2                                  // 000000005A98: D2890048 00010503
	s_mul_i32 s72, s72, s66                                    // 000000005AA0: 92484248
	v_mul_lo_u32 v6, v5, s72                                   // 000000005AA4: D2850006 00009105
	v_readlane_b32 s72, v3, 3                                  // 000000005AAC: D2890048 00010703
	s_mul_i32 s72, s72, s66                                    // 000000005AB4: 92484248
	v_mul_lo_u32 v7, v4, s72                                   // 000000005AB8: D2850007 00009104
	v_add_u32_e32 v65, v6, v7                                  // 000000005AC0: 68820F06
	v_readlane_b32 s72, v3, 4                                  // 000000005AC4: D2890048 00010903
	s_mul_i32 s72, s72, s66                                    // 000000005ACC: 92484248
	v_mul_lo_u32 v6, v5, s72                                   // 000000005AD0: D2850006 00009105
	v_readlane_b32 s72, v3, 5                                  // 000000005AD8: D2890048 00010B03
	s_mul_i32 s72, s72, s66                                    // 000000005AE0: 92484248
	v_mul_lo_u32 v7, v4, s72                                   // 000000005AE4: D2850007 00009104
	v_add_u32_e32 v66, v6, v7                                  // 000000005AEC: 68840F06
	v_readlane_b32 s72, v3, 6                                  // 000000005AF0: D2890048 00010D03
	s_mul_i32 s72, s72, s66                                    // 000000005AF8: 92484248
	v_mul_lo_u32 v6, v5, s72                                   // 000000005AFC: D2850006 00009105
	v_readlane_b32 s72, v3, 7                                  // 000000005B04: D2890048 00010F03
	s_mul_i32 s72, s72, s66                                    // 000000005B0C: 92484248
	v_mul_lo_u32 v7, v4, s72                                   // 000000005B10: D2850007 00009104
	v_add_u32_e32 v67, v6, v7                                  // 000000005B18: 68860F06
	v_readlane_b32 s72, v3, 8                                  // 000000005B1C: D2890048 00011103
	s_mul_i32 s72, s72, s66                                    // 000000005B24: 92484248
	v_mul_lo_u32 v6, v5, s72                                   // 000000005B28: D2850006 00009105
	v_readlane_b32 s72, v3, 9                                  // 000000005B30: D2890048 00011303
	s_mul_i32 s72, s72, s66                                    // 000000005B38: 92484248
	v_mul_lo_u32 v7, v4, s72                                   // 000000005B3C: D2850007 00009104
	v_add_u32_e32 v68, v6, v7                                  // 000000005B44: 68880F06
	v_readlane_b32 s72, v3, 10                                 // 000000005B48: D2890048 00011503
	s_mul_i32 s72, s72, s66                                    // 000000005B50: 92484248
	v_mul_lo_u32 v6, v5, s72                                   // 000000005B54: D2850006 00009105
	v_readlane_b32 s72, v3, 11                                 // 000000005B5C: D2890048 00011703
	s_mul_i32 s72, s72, s66                                    // 000000005B64: 92484248
	v_mul_lo_u32 v7, v4, s72                                   // 000000005B68: D2850007 00009104
	v_add_u32_e32 v69, v6, v7                                  // 000000005B70: 688A0F06
	v_readlane_b32 s72, v3, 12                                 // 000000005B74: D2890048 00011903
	s_mul_i32 s72, s72, s66                                    // 000000005B7C: 92484248
	v_mul_lo_u32 v6, v5, s72                                   // 000000005B80: D2850006 00009105
	v_readlane_b32 s72, v3, 13                                 // 000000005B88: D2890048 00011B03
	s_mul_i32 s72, s72, s66                                    // 000000005B90: 92484248
	v_mul_lo_u32 v7, v4, s72                                   // 000000005B94: D2850007 00009104
	v_add_u32_e32 v70, v6, v7                                  // 000000005B9C: 688C0F06
	v_readlane_b32 s72, v3, 14                                 // 000000005BA0: D2890048 00011D03
	s_mul_i32 s72, s72, s66                                    // 000000005BA8: 92484248
	v_mul_lo_u32 v6, v5, s72                                   // 000000005BAC: D2850006 00009105
	v_readlane_b32 s72, v3, 15                                 // 000000005BB4: D2890048 00011F03
	s_mul_i32 s72, s72, s66                                    // 000000005BBC: 92484248
	v_mul_lo_u32 v7, v4, s72                                   // 000000005BC0: D2850007 00009104
	v_add_u32_e32 v71, v6, v7                                  // 000000005BC8: 688E0F06
	v_and_b32_e32 v4, 31, v0                                   // 000000005BCC: 2608009F
	v_lshrrev_b32_e32 v4, 1, v4                                // 000000005BD0: 20080881
	s_cmp_eq_u32 s74, 0                                        // 000000005BD4: BF06804A
	s_cselect_b32 s53, 2, 4                                    // 000000005BD8: 85358482
	v_mul_lo_u32 v4, v4, s53                                   // 000000005BDC: D2850004 00006B04
	v_and_b32_e64 v5, v0, 1                                    // 000000005BE4: D1130005 00010300
	v_add_u32_e32 v4, v4, v5                                   // 000000005BEC: 68080B04
	v_lshlrev_b32_e32 v4, 2, v4                                // 000000005BF0: 24080882
	v_add_u32_e32 v64, v64, v4                                 // 000000005BF4: 68800940
	v_add_u32_e32 v65, v65, v4                                 // 000000005BF8: 68820941
	v_add_u32_e32 v66, v66, v4                                 // 000000005BFC: 68840942
	v_add_u32_e32 v67, v67, v4                                 // 000000005C00: 68860943
	v_add_u32_e32 v68, v68, v4                                 // 000000005C04: 68880944
	v_add_u32_e32 v69, v69, v4                                 // 000000005C08: 688A0945
	v_add_u32_e32 v70, v70, v4                                 // 000000005C0C: 688C0946
	v_add_u32_e32 v71, v71, v4                                 // 000000005C10: 688E0947
	s_waitcnt lgkmcnt(0)                                       // 000000005C14: BF8CC07F
	s_barrier                                                  // 000000005C18: BF8A0000
	ds_read_b32 v48, v17                                       // 000000005C1C: D86C0000 30000011
	ds_read_b32 v49, v17 offset:64                             // 000000005C24: D86C0040 31000011
	ds_read_b32 v50, v17 offset:2176                           // 000000005C2C: D86C0880 32000011
	ds_read_b32 v51, v17 offset:2240                           // 000000005C34: D86C08C0 33000011
	ds_read_b32 v52, v17 offset:4352                           // 000000005C3C: D86C1100 34000011
	ds_read_b32 v53, v17 offset:4416                           // 000000005C44: D86C1140 35000011
	ds_read_b32 v54, v17 offset:6528                           // 000000005C4C: D86C1980 36000011
	ds_read_b32 v55, v17 offset:6592                           // 000000005C54: D86C19C0 37000011
	ds_read_b32 v56, v17 offset:8704                           // 000000005C5C: D86C2200 38000011
	ds_read_b32 v57, v17 offset:8768                           // 000000005C64: D86C2240 39000011
	ds_read_b32 v58, v17 offset:10880                          // 000000005C6C: D86C2A80 3A000011
	ds_read_b32 v59, v17 offset:10944                          // 000000005C74: D86C2AC0 3B000011
	ds_read_b32 v60, v17 offset:13056                          // 000000005C7C: D86C3300 3C000011
	ds_read_b32 v61, v17 offset:13120                          // 000000005C84: D86C3340 3D000011
	ds_read_b32 v62, v17 offset:15232                          // 000000005C8C: D86C3B80 3E000011
	ds_read_b32 v63, v17 offset:15296                          // 000000005C94: D86C3BC0 3F000011
	s_waitcnt lgkmcnt(0)                                       // 000000005C9C: BF8CC07F
	s_mov_b32 s16, -1                                          // 000000005CA0: BE9000C1
	s_mov_b32 s17, -1                                          // 000000005CA4: BE9100C1
	v_mov_b32_e32 v7, 0                                        // 000000005CA8: 7E0E0280
	s_or_b32 s9, s9, 0x40000                                   // 000000005CAC: 8709FF09 00040000
	s_mov_b64 exec, s[16:17]                                   // 000000005CB4: BEFE0110
	v_mov_b32_e32 v6, v64                                      // 000000005CB8: 7E0C0340
	s_mov_b64 s[52:53], 0                                      // 000000005CBC: BEB40180
	v_readlane_b32 s72, v3, 0                                  // 000000005CC0: D2890048 00010103
	s_cmp_lt_u32 s72, s62                                      // 000000005CC8: BF0A3E48
	s_cselect_b32 s20, s16, s52                                // 000000005CCC: 85143410
	v_readlane_b32 s72, v3, 1                                  // 000000005CD0: D2890048 00010303
	s_cmp_lt_u32 s72, s62                                      // 000000005CD8: BF0A3E48
	s_cselect_b32 s21, s16, s52                                // 000000005CDC: 85153410
	s_mov_b64 exec, s[20:21]                                   // 000000005CE0: BEFE0114
	buffer_store_dword v48, v6, s[8:11], 0 offen               // 000000005CE4: E0701000 80023006
	buffer_store_dword v50, v6, s[8:11], 0 offen offset:128    // 000000005CEC: E0701080 80023206
	s_mov_b64 exec, s[16:17]                                   // 000000005CF4: BEFE0110
	v_mov_b32_e32 v6, v65                                      // 000000005CF8: 7E0C0341
	s_mov_b64 s[52:53], 0                                      // 000000005CFC: BEB40180
	v_readlane_b32 s72, v3, 2                                  // 000000005D00: D2890048 00010503
	s_cmp_lt_u32 s72, s62                                      // 000000005D08: BF0A3E48
	s_cselect_b32 s20, s16, s52                                // 000000005D0C: 85143410
	v_readlane_b32 s72, v3, 3                                  // 000000005D10: D2890048 00010703
	s_cmp_lt_u32 s72, s62                                      // 000000005D18: BF0A3E48
	s_cselect_b32 s21, s16, s52                                // 000000005D1C: 85153410
	s_mov_b64 exec, s[20:21]                                   // 000000005D20: BEFE0114
	buffer_store_dword v49, v6, s[8:11], 0 offen               // 000000005D24: E0701000 80023106
	buffer_store_dword v51, v6, s[8:11], 0 offen offset:128    // 000000005D2C: E0701080 80023306
	s_mov_b64 exec, s[16:17]                                   // 000000005D34: BEFE0110
	v_mov_b32_e32 v6, v66                                      // 000000005D38: 7E0C0342
	s_mov_b64 s[52:53], 0                                      // 000000005D3C: BEB40180
	v_readlane_b32 s72, v3, 4                                  // 000000005D40: D2890048 00010903
	s_cmp_lt_u32 s72, s62                                      // 000000005D48: BF0A3E48
	s_cselect_b32 s20, s16, s52                                // 000000005D4C: 85143410
	v_readlane_b32 s72, v3, 5                                  // 000000005D50: D2890048 00010B03
	s_cmp_lt_u32 s72, s62                                      // 000000005D58: BF0A3E48
	s_cselect_b32 s21, s16, s52                                // 000000005D5C: 85153410
	s_mov_b64 exec, s[20:21]                                   // 000000005D60: BEFE0114
	buffer_store_dword v52, v6, s[8:11], 0 offen               // 000000005D64: E0701000 80023406
	buffer_store_dword v54, v6, s[8:11], 0 offen offset:128    // 000000005D6C: E0701080 80023606
	s_mov_b64 exec, s[16:17]                                   // 000000005D74: BEFE0110
	v_mov_b32_e32 v6, v67                                      // 000000005D78: 7E0C0343
	s_mov_b64 s[52:53], 0                                      // 000000005D7C: BEB40180
	v_readlane_b32 s72, v3, 6                                  // 000000005D80: D2890048 00010D03
	s_cmp_lt_u32 s72, s62                                      // 000000005D88: BF0A3E48
	s_cselect_b32 s20, s16, s52                                // 000000005D8C: 85143410
	v_readlane_b32 s72, v3, 7                                  // 000000005D90: D2890048 00010F03
	s_cmp_lt_u32 s72, s62                                      // 000000005D98: BF0A3E48
	s_cselect_b32 s21, s16, s52                                // 000000005D9C: 85153410
	s_mov_b64 exec, s[20:21]                                   // 000000005DA0: BEFE0114
	buffer_store_dword v53, v6, s[8:11], 0 offen               // 000000005DA4: E0701000 80023506
	buffer_store_dword v55, v6, s[8:11], 0 offen offset:128    // 000000005DAC: E0701080 80023706
	s_mov_b64 exec, s[16:17]                                   // 000000005DB4: BEFE0110
	v_mov_b32_e32 v6, v68                                      // 000000005DB8: 7E0C0344
	s_mov_b64 s[52:53], 0                                      // 000000005DBC: BEB40180
	v_readlane_b32 s72, v3, 8                                  // 000000005DC0: D2890048 00011103
	s_cmp_lt_u32 s72, s62                                      // 000000005DC8: BF0A3E48
	s_cselect_b32 s20, s16, s52                                // 000000005DCC: 85143410
	v_readlane_b32 s72, v3, 9                                  // 000000005DD0: D2890048 00011303
	s_cmp_lt_u32 s72, s62                                      // 000000005DD8: BF0A3E48
	s_cselect_b32 s21, s16, s52                                // 000000005DDC: 85153410
	s_mov_b64 exec, s[20:21]                                   // 000000005DE0: BEFE0114
	buffer_store_dword v56, v6, s[8:11], 0 offen               // 000000005DE4: E0701000 80023806
	buffer_store_dword v58, v6, s[8:11], 0 offen offset:128    // 000000005DEC: E0701080 80023A06
	s_mov_b64 exec, s[16:17]                                   // 000000005DF4: BEFE0110
	v_mov_b32_e32 v6, v69                                      // 000000005DF8: 7E0C0345
	s_mov_b64 s[52:53], 0                                      // 000000005DFC: BEB40180
	v_readlane_b32 s72, v3, 10                                 // 000000005E00: D2890048 00011503
	s_cmp_lt_u32 s72, s62                                      // 000000005E08: BF0A3E48
	s_cselect_b32 s20, s16, s52                                // 000000005E0C: 85143410
	v_readlane_b32 s72, v3, 11                                 // 000000005E10: D2890048 00011703
	s_cmp_lt_u32 s72, s62                                      // 000000005E18: BF0A3E48
	s_cselect_b32 s21, s16, s52                                // 000000005E1C: 85153410
	s_mov_b64 exec, s[20:21]                                   // 000000005E20: BEFE0114
	buffer_store_dword v57, v6, s[8:11], 0 offen               // 000000005E24: E0701000 80023906
	buffer_store_dword v59, v6, s[8:11], 0 offen offset:128    // 000000005E2C: E0701080 80023B06
	s_mov_b64 exec, s[16:17]                                   // 000000005E34: BEFE0110
	v_mov_b32_e32 v6, v70                                      // 000000005E38: 7E0C0346
	s_mov_b64 s[52:53], 0                                      // 000000005E3C: BEB40180
	v_readlane_b32 s72, v3, 12                                 // 000000005E40: D2890048 00011903
	s_cmp_lt_u32 s72, s62                                      // 000000005E48: BF0A3E48
	s_cselect_b32 s20, s16, s52                                // 000000005E4C: 85143410
	v_readlane_b32 s72, v3, 13                                 // 000000005E50: D2890048 00011B03
	s_cmp_lt_u32 s72, s62                                      // 000000005E58: BF0A3E48
	s_cselect_b32 s21, s16, s52                                // 000000005E5C: 85153410
	s_mov_b64 exec, s[20:21]                                   // 000000005E60: BEFE0114
	buffer_store_dword v60, v6, s[8:11], 0 offen               // 000000005E64: E0701000 80023C06
	buffer_store_dword v62, v6, s[8:11], 0 offen offset:128    // 000000005E6C: E0701080 80023E06
	s_mov_b64 exec, s[16:17]                                   // 000000005E74: BEFE0110
	v_mov_b32_e32 v6, v71                                      // 000000005E78: 7E0C0347
	s_mov_b64 s[52:53], 0                                      // 000000005E7C: BEB40180
	v_readlane_b32 s72, v3, 14                                 // 000000005E80: D2890048 00011D03
	s_cmp_lt_u32 s72, s62                                      // 000000005E88: BF0A3E48
	s_cselect_b32 s20, s16, s52                                // 000000005E8C: 85143410
	v_readlane_b32 s72, v3, 15                                 // 000000005E90: D2890048 00011F03
	s_cmp_lt_u32 s72, s62                                      // 000000005E98: BF0A3E48
	s_cselect_b32 s21, s16, s52                                // 000000005E9C: 85153410
	s_mov_b64 exec, s[20:21]                                   // 000000005EA0: BEFE0114
	buffer_store_dword v61, v6, s[8:11], 0 offen               // 000000005EA4: E0701000 80023D06
	buffer_store_dword v63, v6, s[8:11], 0 offen offset:128    // 000000005EAC: E0701080 80023F06
	s_mov_b64 exec, s[16:17]                                   // 000000005EB4: BEFE0110
	s_waitcnt lgkmcnt(0)                                       // 000000005EB8: BF8CC07F
	s_barrier                                                  // 000000005EBC: BF8A0000
	ds_write_b64 v16, v[80:81]                                 // 000000005EC0: D89A0000 00005010
	ds_write_b64 v16, v[82:83] offset:4352                     // 000000005EC8: D89A1100 00005210
	ds_write_b64 v16, v[84:85] offset:8704                     // 000000005ED0: D89A2200 00005410
	ds_write_b64 v16, v[86:87] offset:13056                    // 000000005ED8: D89A3300 00005610
	ds_write_b64 v16, v[88:89] offset:2176                     // 000000005EE0: D89A0880 00005810
	ds_write_b64 v16, v[90:91] offset:6528                     // 000000005EE8: D89A1980 00005A10
	ds_write_b64 v16, v[92:93] offset:10880                    // 000000005EF0: D89A2A80 00005C10
	ds_write_b64 v16, v[94:95] offset:15232                    // 000000005EF8: D89A3B80 00005E10
	s_waitcnt lgkmcnt(0)                                       // 000000005F00: BF8CC07F
	s_barrier                                                  // 000000005F04: BF8A0000
	ds_read_b32 v80, v17                                       // 000000005F08: D86C0000 50000011
	ds_read_b32 v81, v17 offset:64                             // 000000005F10: D86C0040 51000011
	ds_read_b32 v82, v17 offset:2176                           // 000000005F18: D86C0880 52000011
	ds_read_b32 v83, v17 offset:2240                           // 000000005F20: D86C08C0 53000011
	ds_read_b32 v84, v17 offset:4352                           // 000000005F28: D86C1100 54000011
	ds_read_b32 v85, v17 offset:4416                           // 000000005F30: D86C1140 55000011
	ds_read_b32 v86, v17 offset:6528                           // 000000005F38: D86C1980 56000011
	ds_read_b32 v87, v17 offset:6592                           // 000000005F40: D86C19C0 57000011
	ds_read_b32 v88, v17 offset:8704                           // 000000005F48: D86C2200 58000011
	ds_read_b32 v89, v17 offset:8768                           // 000000005F50: D86C2240 59000011
	ds_read_b32 v90, v17 offset:10880                          // 000000005F58: D86C2A80 5A000011
	ds_read_b32 v91, v17 offset:10944                          // 000000005F60: D86C2AC0 5B000011
	ds_read_b32 v92, v17 offset:13056                          // 000000005F68: D86C3300 5C000011
	ds_read_b32 v93, v17 offset:13120                          // 000000005F70: D86C3340 5D000011
	ds_read_b32 v94, v17 offset:15232                          // 000000005F78: D86C3B80 5E000011
	ds_read_b32 v95, v17 offset:15296                          // 000000005F80: D86C3BC0 5F000011
	s_waitcnt lgkmcnt(0)                                       // 000000005F88: BF8CC07F
	s_mov_b32 s16, -1                                          // 000000005F8C: BE9000C1
	s_mov_b32 s17, -1                                          // 000000005F90: BE9100C1
	v_mov_b32_e32 v7, 0                                        // 000000005F94: 7E0E0280
	s_add_u32 s8, 0x100, s8                                    // 000000005F98: 800808FF 00000100
	s_addc_u32 s9, 0, s9                                       // 000000005FA0: 82090980
	s_or_b32 s9, s9, 0x40000                                   // 000000005FA4: 8709FF09 00040000
	s_mov_b64 exec, s[16:17]                                   // 000000005FAC: BEFE0110
	v_mov_b32_e32 v6, v64                                      // 000000005FB0: 7E0C0340
	s_mov_b64 s[52:53], 0                                      // 000000005FB4: BEB40180
	v_readlane_b32 s72, v3, 0                                  // 000000005FB8: D2890048 00010103
	s_cmp_lt_u32 s72, s62                                      // 000000005FC0: BF0A3E48
	s_cselect_b32 s20, s16, s52                                // 000000005FC4: 85143410
	v_readlane_b32 s72, v3, 1                                  // 000000005FC8: D2890048 00010303
	s_cmp_lt_u32 s72, s62                                      // 000000005FD0: BF0A3E48
	s_cselect_b32 s21, s16, s52                                // 000000005FD4: 85153410
	s_mov_b64 exec, s[20:21]                                   // 000000005FD8: BEFE0114
	buffer_store_dword v80, v6, s[8:11], 0 offen               // 000000005FDC: E0701000 80025006
	buffer_store_dword v82, v6, s[8:11], 0 offen offset:128    // 000000005FE4: E0701080 80025206
	s_mov_b64 exec, s[16:17]                                   // 000000005FEC: BEFE0110
	v_mov_b32_e32 v6, v65                                      // 000000005FF0: 7E0C0341
	s_mov_b64 s[52:53], 0                                      // 000000005FF4: BEB40180
	v_readlane_b32 s72, v3, 2                                  // 000000005FF8: D2890048 00010503
	s_cmp_lt_u32 s72, s62                                      // 000000006000: BF0A3E48
	s_cselect_b32 s20, s16, s52                                // 000000006004: 85143410
	v_readlane_b32 s72, v3, 3                                  // 000000006008: D2890048 00010703
	s_cmp_lt_u32 s72, s62                                      // 000000006010: BF0A3E48
	s_cselect_b32 s21, s16, s52                                // 000000006014: 85153410
	s_mov_b64 exec, s[20:21]                                   // 000000006018: BEFE0114
	buffer_store_dword v81, v6, s[8:11], 0 offen               // 00000000601C: E0701000 80025106
	buffer_store_dword v83, v6, s[8:11], 0 offen offset:128    // 000000006024: E0701080 80025306
	s_mov_b64 exec, s[16:17]                                   // 00000000602C: BEFE0110
	v_mov_b32_e32 v6, v66                                      // 000000006030: 7E0C0342
	s_mov_b64 s[52:53], 0                                      // 000000006034: BEB40180
	v_readlane_b32 s72, v3, 4                                  // 000000006038: D2890048 00010903
	s_cmp_lt_u32 s72, s62                                      // 000000006040: BF0A3E48
	s_cselect_b32 s20, s16, s52                                // 000000006044: 85143410
	v_readlane_b32 s72, v3, 5                                  // 000000006048: D2890048 00010B03
	s_cmp_lt_u32 s72, s62                                      // 000000006050: BF0A3E48
	s_cselect_b32 s21, s16, s52                                // 000000006054: 85153410
	s_mov_b64 exec, s[20:21]                                   // 000000006058: BEFE0114
	buffer_store_dword v84, v6, s[8:11], 0 offen               // 00000000605C: E0701000 80025406
	buffer_store_dword v86, v6, s[8:11], 0 offen offset:128    // 000000006064: E0701080 80025606
	s_mov_b64 exec, s[16:17]                                   // 00000000606C: BEFE0110
	v_mov_b32_e32 v6, v67                                      // 000000006070: 7E0C0343
	s_mov_b64 s[52:53], 0                                      // 000000006074: BEB40180
	v_readlane_b32 s72, v3, 6                                  // 000000006078: D2890048 00010D03
	s_cmp_lt_u32 s72, s62                                      // 000000006080: BF0A3E48
	s_cselect_b32 s20, s16, s52                                // 000000006084: 85143410
	v_readlane_b32 s72, v3, 7                                  // 000000006088: D2890048 00010F03
	s_cmp_lt_u32 s72, s62                                      // 000000006090: BF0A3E48
	s_cselect_b32 s21, s16, s52                                // 000000006094: 85153410
	s_mov_b64 exec, s[20:21]                                   // 000000006098: BEFE0114
	buffer_store_dword v85, v6, s[8:11], 0 offen               // 00000000609C: E0701000 80025506
	buffer_store_dword v87, v6, s[8:11], 0 offen offset:128    // 0000000060A4: E0701080 80025706
	s_mov_b64 exec, s[16:17]                                   // 0000000060AC: BEFE0110
	v_mov_b32_e32 v6, v68                                      // 0000000060B0: 7E0C0344
	s_mov_b64 s[52:53], 0                                      // 0000000060B4: BEB40180
	v_readlane_b32 s72, v3, 8                                  // 0000000060B8: D2890048 00011103
	s_cmp_lt_u32 s72, s62                                      // 0000000060C0: BF0A3E48
	s_cselect_b32 s20, s16, s52                                // 0000000060C4: 85143410
	v_readlane_b32 s72, v3, 9                                  // 0000000060C8: D2890048 00011303
	s_cmp_lt_u32 s72, s62                                      // 0000000060D0: BF0A3E48
	s_cselect_b32 s21, s16, s52                                // 0000000060D4: 85153410
	s_mov_b64 exec, s[20:21]                                   // 0000000060D8: BEFE0114
	buffer_store_dword v88, v6, s[8:11], 0 offen               // 0000000060DC: E0701000 80025806
	buffer_store_dword v90, v6, s[8:11], 0 offen offset:128    // 0000000060E4: E0701080 80025A06
	s_mov_b64 exec, s[16:17]                                   // 0000000060EC: BEFE0110
	v_mov_b32_e32 v6, v69                                      // 0000000060F0: 7E0C0345
	s_mov_b64 s[52:53], 0                                      // 0000000060F4: BEB40180
	v_readlane_b32 s72, v3, 10                                 // 0000000060F8: D2890048 00011503
	s_cmp_lt_u32 s72, s62                                      // 000000006100: BF0A3E48
	s_cselect_b32 s20, s16, s52                                // 000000006104: 85143410
	v_readlane_b32 s72, v3, 11                                 // 000000006108: D2890048 00011703
	s_cmp_lt_u32 s72, s62                                      // 000000006110: BF0A3E48
	s_cselect_b32 s21, s16, s52                                // 000000006114: 85153410
	s_mov_b64 exec, s[20:21]                                   // 000000006118: BEFE0114
	buffer_store_dword v89, v6, s[8:11], 0 offen               // 00000000611C: E0701000 80025906
	buffer_store_dword v91, v6, s[8:11], 0 offen offset:128    // 000000006124: E0701080 80025B06
	s_mov_b64 exec, s[16:17]                                   // 00000000612C: BEFE0110
	v_mov_b32_e32 v6, v70                                      // 000000006130: 7E0C0346
	s_mov_b64 s[52:53], 0                                      // 000000006134: BEB40180
	v_readlane_b32 s72, v3, 12                                 // 000000006138: D2890048 00011903
	s_cmp_lt_u32 s72, s62                                      // 000000006140: BF0A3E48
	s_cselect_b32 s20, s16, s52                                // 000000006144: 85143410
	v_readlane_b32 s72, v3, 13                                 // 000000006148: D2890048 00011B03
	s_cmp_lt_u32 s72, s62                                      // 000000006150: BF0A3E48
	s_cselect_b32 s21, s16, s52                                // 000000006154: 85153410
	s_mov_b64 exec, s[20:21]                                   // 000000006158: BEFE0114
	buffer_store_dword v92, v6, s[8:11], 0 offen               // 00000000615C: E0701000 80025C06
	buffer_store_dword v94, v6, s[8:11], 0 offen offset:128    // 000000006164: E0701080 80025E06
	s_mov_b64 exec, s[16:17]                                   // 00000000616C: BEFE0110
	v_mov_b32_e32 v6, v71                                      // 000000006170: 7E0C0347
	s_mov_b64 s[52:53], 0                                      // 000000006174: BEB40180
	v_readlane_b32 s72, v3, 14                                 // 000000006178: D2890048 00011D03
	s_cmp_lt_u32 s72, s62                                      // 000000006180: BF0A3E48
	s_cselect_b32 s20, s16, s52                                // 000000006184: 85143410
	v_readlane_b32 s72, v3, 15                                 // 000000006188: D2890048 00011F03
	s_cmp_lt_u32 s72, s62                                      // 000000006190: BF0A3E48
	s_cselect_b32 s21, s16, s52                                // 000000006194: 85153410
	s_mov_b64 exec, s[20:21]                                   // 000000006198: BEFE0114
	buffer_store_dword v93, v6, s[8:11], 0 offen               // 00000000619C: E0701000 80025D06
	buffer_store_dword v95, v6, s[8:11], 0 offen offset:128    // 0000000061A4: E0701080 80025F06
	s_mov_b64 exec, s[16:17]                                   // 0000000061AC: BEFE0110
	s_branch label_117A                                        // 0000000061B0: BF82034A

00000000000061b4 <label_0E30>:
	ds_write_b64 v16, v[48:49]                                 // 0000000061B4: D89A0000 00003010
	ds_write_b64 v16, v[52:53] offset:4352                     // 0000000061BC: D89A1100 00003410
	ds_write_b64 v16, v[56:57] offset:8704                     // 0000000061C4: D89A2200 00003810
	ds_write_b64 v16, v[60:61] offset:13056                    // 0000000061CC: D89A3300 00003C10
	ds_write_b64 v16, v[64:65] offset:2176                     // 0000000061D4: D89A0880 00004010
	ds_write_b64 v16, v[68:69] offset:6528                     // 0000000061DC: D89A1980 00004410
	ds_write_b64 v16, v[72:73] offset:10880                    // 0000000061E4: D89A2A80 00004810
	ds_write_b64 v16, v[76:77] offset:15232                    // 0000000061EC: D89A3B80 00004C10
	v_lshrrev_b32_e32 v4, 5, v0                                // 0000000061F4: 20080085
	v_xor_b32_e32 v5, 1, v4                                    // 0000000061F8: 2A0A0881
	s_mul_i32 s52, s61, 2                                      // 0000000061FC: 9234823D
	s_cmp_eq_u32 s74, 0                                        // 000000006200: BF06804A
	s_cselect_b32 s53, 1, 4                                    // 000000006204: 85358481
	s_mul_i32 s52, s53, s52                                    // 000000006208: 92343435
	v_readlane_b32 s72, v3, 0                                  // 00000000620C: D2890048 00010103
	s_mul_i32 s72, s72, s66                                    // 000000006214: 92484248
	v_mul_lo_u32 v6, v5, s72                                   // 000000006218: D2850006 00009105
	v_readlane_b32 s72, v3, 1                                  // 000000006220: D2890048 00010303
	s_mul_i32 s72, s72, s66                                    // 000000006228: 92484248
	v_mul_lo_u32 v7, v4, s72                                   // 00000000622C: D2850007 00009104
	v_add_u32_e32 v64, v6, v7                                  // 000000006234: 68800F06
	v_readlane_b32 s72, v3, 2                                  // 000000006238: D2890048 00010503
	s_mul_i32 s72, s72, s66                                    // 000000006240: 92484248
	v_mul_lo_u32 v6, v5, s72                                   // 000000006244: D2850006 00009105
	v_readlane_b32 s72, v3, 3                                  // 00000000624C: D2890048 00010703
	s_mul_i32 s72, s72, s66                                    // 000000006254: 92484248
	v_mul_lo_u32 v7, v4, s72                                   // 000000006258: D2850007 00009104
	v_add_u32_e32 v65, v6, v7                                  // 000000006260: 68820F06
	v_readlane_b32 s72, v3, 4                                  // 000000006264: D2890048 00010903
	s_mul_i32 s72, s72, s66                                    // 00000000626C: 92484248
	v_mul_lo_u32 v6, v5, s72                                   // 000000006270: D2850006 00009105
	v_readlane_b32 s72, v3, 5                                  // 000000006278: D2890048 00010B03
	s_mul_i32 s72, s72, s66                                    // 000000006280: 92484248
	v_mul_lo_u32 v7, v4, s72                                   // 000000006284: D2850007 00009104
	v_add_u32_e32 v66, v6, v7                                  // 00000000628C: 68840F06
	v_readlane_b32 s72, v3, 6                                  // 000000006290: D2890048 00010D03
	s_mul_i32 s72, s72, s66                                    // 000000006298: 92484248
	v_mul_lo_u32 v6, v5, s72                                   // 00000000629C: D2850006 00009105
	v_readlane_b32 s72, v3, 7                                  // 0000000062A4: D2890048 00010F03
	s_mul_i32 s72, s72, s66                                    // 0000000062AC: 92484248
	v_mul_lo_u32 v7, v4, s72                                   // 0000000062B0: D2850007 00009104
	v_add_u32_e32 v67, v6, v7                                  // 0000000062B8: 68860F06
	v_readlane_b32 s72, v3, 8                                  // 0000000062BC: D2890048 00011103
	s_mul_i32 s72, s72, s66                                    // 0000000062C4: 92484248
	v_mul_lo_u32 v6, v5, s72                                   // 0000000062C8: D2850006 00009105
	v_readlane_b32 s72, v3, 9                                  // 0000000062D0: D2890048 00011303
	s_mul_i32 s72, s72, s66                                    // 0000000062D8: 92484248
	v_mul_lo_u32 v7, v4, s72                                   // 0000000062DC: D2850007 00009104
	v_add_u32_e32 v68, v6, v7                                  // 0000000062E4: 68880F06
	v_readlane_b32 s72, v3, 10                                 // 0000000062E8: D2890048 00011503
	s_mul_i32 s72, s72, s66                                    // 0000000062F0: 92484248
	v_mul_lo_u32 v6, v5, s72                                   // 0000000062F4: D2850006 00009105
	v_readlane_b32 s72, v3, 11                                 // 0000000062FC: D2890048 00011703
	s_mul_i32 s72, s72, s66                                    // 000000006304: 92484248
	v_mul_lo_u32 v7, v4, s72                                   // 000000006308: D2850007 00009104
	v_add_u32_e32 v69, v6, v7                                  // 000000006310: 688A0F06
	v_readlane_b32 s72, v3, 12                                 // 000000006314: D2890048 00011903
	s_mul_i32 s72, s72, s66                                    // 00000000631C: 92484248
	v_mul_lo_u32 v6, v5, s72                                   // 000000006320: D2850006 00009105
	v_readlane_b32 s72, v3, 13                                 // 000000006328: D2890048 00011B03
	s_mul_i32 s72, s72, s66                                    // 000000006330: 92484248
	v_mul_lo_u32 v7, v4, s72                                   // 000000006334: D2850007 00009104
	v_add_u32_e32 v70, v6, v7                                  // 00000000633C: 688C0F06
	v_readlane_b32 s72, v3, 14                                 // 000000006340: D2890048 00011D03
	s_mul_i32 s72, s72, s66                                    // 000000006348: 92484248
	v_mul_lo_u32 v6, v5, s72                                   // 00000000634C: D2850006 00009105
	v_readlane_b32 s72, v3, 15                                 // 000000006354: D2890048 00011F03
	s_mul_i32 s72, s72, s66                                    // 00000000635C: 92484248
	v_mul_lo_u32 v7, v4, s72                                   // 000000006360: D2850007 00009104
	v_add_u32_e32 v71, v6, v7                                  // 000000006368: 688E0F06
	v_and_b32_e32 v4, 31, v0                                   // 00000000636C: 2608009F
	v_lshrrev_b32_e32 v4, 1, v4                                // 000000006370: 20080881
	s_cmp_eq_u32 s74, 0                                        // 000000006374: BF06804A
	s_cselect_b32 s53, 2, 4                                    // 000000006378: 85358482
	v_mul_lo_u32 v4, v4, s53                                   // 00000000637C: D2850004 00006B04
	v_and_b32_e64 v5, v0, 1                                    // 000000006384: D1130005 00010300
	v_add_u32_e32 v4, v4, v5                                   // 00000000638C: 68080B04
	v_lshlrev_b32_e32 v4, 2, v4                                // 000000006390: 24080882
	v_add_u32_e32 v64, v64, v4                                 // 000000006394: 68800940
	v_add_u32_e32 v65, v65, v4                                 // 000000006398: 68820941
	v_add_u32_e32 v66, v66, v4                                 // 00000000639C: 68840942
	v_add_u32_e32 v67, v67, v4                                 // 0000000063A0: 68860943
	v_add_u32_e32 v68, v68, v4                                 // 0000000063A4: 68880944
	v_add_u32_e32 v69, v69, v4                                 // 0000000063A8: 688A0945
	v_add_u32_e32 v70, v70, v4                                 // 0000000063AC: 688C0946
	v_add_u32_e32 v71, v71, v4                                 // 0000000063B0: 688E0947
	s_waitcnt lgkmcnt(0)                                       // 0000000063B4: BF8CC07F
	s_barrier                                                  // 0000000063B8: BF8A0000
	ds_read_b32 v48, v17                                       // 0000000063BC: D86C0000 30000011
	ds_read_b32 v49, v17 offset:64                             // 0000000063C4: D86C0040 31000011
	ds_read_b32 v52, v17 offset:2176                           // 0000000063CC: D86C0880 34000011
	ds_read_b32 v53, v17 offset:2240                           // 0000000063D4: D86C08C0 35000011
	ds_read_b32 v56, v17 offset:4352                           // 0000000063DC: D86C1100 38000011
	ds_read_b32 v57, v17 offset:4416                           // 0000000063E4: D86C1140 39000011
	ds_read_b32 v60, v17 offset:6528                           // 0000000063EC: D86C1980 3C000011
	ds_read_b32 v61, v17 offset:6592                           // 0000000063F4: D86C19C0 3D000011
	ds_read_b32 v64, v17 offset:8704                           // 0000000063FC: D86C2200 40000011
	ds_read_b32 v65, v17 offset:8768                           // 000000006404: D86C2240 41000011
	ds_read_b32 v68, v17 offset:10880                          // 00000000640C: D86C2A80 44000011
	ds_read_b32 v69, v17 offset:10944                          // 000000006414: D86C2AC0 45000011
	ds_read_b32 v72, v17 offset:13056                          // 00000000641C: D86C3300 48000011
	ds_read_b32 v73, v17 offset:13120                          // 000000006424: D86C3340 49000011
	ds_read_b32 v76, v17 offset:15232                          // 00000000642C: D86C3B80 4C000011
	ds_read_b32 v77, v17 offset:15296                          // 000000006434: D86C3BC0 4D000011
	s_waitcnt lgkmcnt(0)                                       // 00000000643C: BF8CC07F
	s_mov_b32 s16, -1                                          // 000000006440: BE9000C1
	s_mov_b32 s17, -1                                          // 000000006444: BE9100C1
	v_mov_b32_e32 v7, 0                                        // 000000006448: 7E0E0280
	s_mov_b64 exec, s[16:17]                                   // 00000000644C: BEFE0110
	v_mov_b32_e32 v6, v64                                      // 000000006450: 7E0C0340
	s_mov_b64 s[52:53], 0                                      // 000000006454: BEB40180
	v_readlane_b32 s72, v3, 0                                  // 000000006458: D2890048 00010103
	s_cmp_lt_u32 s72, s62                                      // 000000006460: BF0A3E48
	s_cselect_b32 s20, s16, s52                                // 000000006464: 85143410
	v_readlane_b32 s72, v3, 1                                  // 000000006468: D2890048 00010303
	s_cmp_lt_u32 s72, s62                                      // 000000006470: BF0A3E48
	s_cselect_b32 s21, s16, s52                                // 000000006474: 85153410
	s_mov_b64 exec, s[20:21]                                   // 000000006478: BEFE0114
	global_atomic_add_f32 v6, v48, s[8:9]                      // 00000000647C: DD348000 00083006
	global_atomic_add_f32 v6, v52, s[8:9] offset:256           // 000000006484: DD348100 00083406
	s_mov_b64 exec, s[16:17]                                   // 00000000648C: BEFE0110
	v_mov_b32_e32 v6, v65                                      // 000000006490: 7E0C0341
	s_mov_b64 s[52:53], 0                                      // 000000006494: BEB40180
	v_readlane_b32 s72, v3, 2                                  // 000000006498: D2890048 00010503
	s_cmp_lt_u32 s72, s62                                      // 0000000064A0: BF0A3E48
	s_cselect_b32 s20, s16, s52                                // 0000000064A4: 85143410
	v_readlane_b32 s72, v3, 3                                  // 0000000064A8: D2890048 00010703
	s_cmp_lt_u32 s72, s62                                      // 0000000064B0: BF0A3E48
	s_cselect_b32 s21, s16, s52                                // 0000000064B4: 85153410
	s_mov_b64 exec, s[20:21]                                   // 0000000064B8: BEFE0114
	global_atomic_add_f32 v6, v49, s[8:9]                      // 0000000064BC: DD348000 00083106
	global_atomic_add_f32 v6, v53, s[8:9] offset:256           // 0000000064C4: DD348100 00083506
	s_mov_b64 exec, s[16:17]                                   // 0000000064CC: BEFE0110
	v_mov_b32_e32 v6, v66                                      // 0000000064D0: 7E0C0342
	s_mov_b64 s[52:53], 0                                      // 0000000064D4: BEB40180
	v_readlane_b32 s72, v3, 4                                  // 0000000064D8: D2890048 00010903
	s_cmp_lt_u32 s72, s62                                      // 0000000064E0: BF0A3E48
	s_cselect_b32 s20, s16, s52                                // 0000000064E4: 85143410
	v_readlane_b32 s72, v3, 5                                  // 0000000064E8: D2890048 00010B03
	s_cmp_lt_u32 s72, s62                                      // 0000000064F0: BF0A3E48
	s_cselect_b32 s21, s16, s52                                // 0000000064F4: 85153410
	s_mov_b64 exec, s[20:21]                                   // 0000000064F8: BEFE0114
	global_atomic_add_f32 v6, v56, s[8:9]                      // 0000000064FC: DD348000 00083806
	global_atomic_add_f32 v6, v60, s[8:9] offset:256           // 000000006504: DD348100 00083C06
	s_mov_b64 exec, s[16:17]                                   // 00000000650C: BEFE0110
	v_mov_b32_e32 v6, v67                                      // 000000006510: 7E0C0343
	s_mov_b64 s[52:53], 0                                      // 000000006514: BEB40180
	v_readlane_b32 s72, v3, 6                                  // 000000006518: D2890048 00010D03
	s_cmp_lt_u32 s72, s62                                      // 000000006520: BF0A3E48
	s_cselect_b32 s20, s16, s52                                // 000000006524: 85143410
	v_readlane_b32 s72, v3, 7                                  // 000000006528: D2890048 00010F03
	s_cmp_lt_u32 s72, s62                                      // 000000006530: BF0A3E48
	s_cselect_b32 s21, s16, s52                                // 000000006534: 85153410
	s_mov_b64 exec, s[20:21]                                   // 000000006538: BEFE0114
	global_atomic_add_f32 v6, v57, s[8:9]                      // 00000000653C: DD348000 00083906
	global_atomic_add_f32 v6, v61, s[8:9] offset:256           // 000000006544: DD348100 00083D06
	s_mov_b64 exec, s[16:17]                                   // 00000000654C: BEFE0110
	v_mov_b32_e32 v6, v68                                      // 000000006550: 7E0C0344
	s_mov_b64 s[52:53], 0                                      // 000000006554: BEB40180
	v_readlane_b32 s72, v3, 8                                  // 000000006558: D2890048 00011103
	s_cmp_lt_u32 s72, s62                                      // 000000006560: BF0A3E48
	s_cselect_b32 s20, s16, s52                                // 000000006564: 85143410
	v_readlane_b32 s72, v3, 9                                  // 000000006568: D2890048 00011303
	s_cmp_lt_u32 s72, s62                                      // 000000006570: BF0A3E48
	s_cselect_b32 s21, s16, s52                                // 000000006574: 85153410
	s_mov_b64 exec, s[20:21]                                   // 000000006578: BEFE0114
	global_atomic_add_f32 v6, v64, s[8:9]                      // 00000000657C: DD348000 00084006
	global_atomic_add_f32 v6, v68, s[8:9] offset:256           // 000000006584: DD348100 00084406
	s_mov_b64 exec, s[16:17]                                   // 00000000658C: BEFE0110
	v_mov_b32_e32 v6, v69                                      // 000000006590: 7E0C0345
	s_mov_b64 s[52:53], 0                                      // 000000006594: BEB40180
	v_readlane_b32 s72, v3, 10                                 // 000000006598: D2890048 00011503
	s_cmp_lt_u32 s72, s62                                      // 0000000065A0: BF0A3E48
	s_cselect_b32 s20, s16, s52                                // 0000000065A4: 85143410
	v_readlane_b32 s72, v3, 11                                 // 0000000065A8: D2890048 00011703
	s_cmp_lt_u32 s72, s62                                      // 0000000065B0: BF0A3E48
	s_cselect_b32 s21, s16, s52                                // 0000000065B4: 85153410
	s_mov_b64 exec, s[20:21]                                   // 0000000065B8: BEFE0114
	global_atomic_add_f32 v6, v65, s[8:9]                      // 0000000065BC: DD348000 00084106
	global_atomic_add_f32 v6, v69, s[8:9] offset:256           // 0000000065C4: DD348100 00084506
	s_mov_b64 exec, s[16:17]                                   // 0000000065CC: BEFE0110
	v_mov_b32_e32 v6, v70                                      // 0000000065D0: 7E0C0346
	s_mov_b64 s[52:53], 0                                      // 0000000065D4: BEB40180
	v_readlane_b32 s72, v3, 12                                 // 0000000065D8: D2890048 00011903
	s_cmp_lt_u32 s72, s62                                      // 0000000065E0: BF0A3E48
	s_cselect_b32 s20, s16, s52                                // 0000000065E4: 85143410
	v_readlane_b32 s72, v3, 13                                 // 0000000065E8: D2890048 00011B03
	s_cmp_lt_u32 s72, s62                                      // 0000000065F0: BF0A3E48
	s_cselect_b32 s21, s16, s52                                // 0000000065F4: 85153410
	s_mov_b64 exec, s[20:21]                                   // 0000000065F8: BEFE0114
	global_atomic_add_f32 v6, v72, s[8:9]                      // 0000000065FC: DD348000 00084806
	global_atomic_add_f32 v6, v76, s[8:9] offset:256           // 000000006604: DD348100 00084C06
	s_mov_b64 exec, s[16:17]                                   // 00000000660C: BEFE0110
	v_mov_b32_e32 v6, v71                                      // 000000006610: 7E0C0347
	s_mov_b64 s[52:53], 0                                      // 000000006614: BEB40180
	v_readlane_b32 s72, v3, 14                                 // 000000006618: D2890048 00011D03
	s_cmp_lt_u32 s72, s62                                      // 000000006620: BF0A3E48
	s_cselect_b32 s20, s16, s52                                // 000000006624: 85143410
	v_readlane_b32 s72, v3, 15                                 // 000000006628: D2890048 00011F03
	s_cmp_lt_u32 s72, s62                                      // 000000006630: BF0A3E48
	s_cselect_b32 s21, s16, s52                                // 000000006634: 85153410
	s_mov_b64 exec, s[20:21]                                   // 000000006638: BEFE0114
	global_atomic_add_f32 v6, v73, s[8:9]                      // 00000000663C: DD348000 00084906
	global_atomic_add_f32 v6, v77, s[8:9] offset:256           // 000000006644: DD348100 00084D06
	s_mov_b64 exec, s[16:17]                                   // 00000000664C: BEFE0110
	ds_write_b64 v16, v[50:51]                                 // 000000006650: D89A0000 00003210
	ds_write_b64 v16, v[54:55] offset:4352                     // 000000006658: D89A1100 00003610
	ds_write_b64 v16, v[58:59] offset:8704                     // 000000006660: D89A2200 00003A10
	ds_write_b64 v16, v[62:63] offset:13056                    // 000000006668: D89A3300 00003E10
	ds_write_b64 v16, v[66:67] offset:2176                     // 000000006670: D89A0880 00004210
	ds_write_b64 v16, v[70:71] offset:6528                     // 000000006678: D89A1980 00004610
	ds_write_b64 v16, v[74:75] offset:10880                    // 000000006680: D89A2A80 00004A10
	ds_write_b64 v16, v[78:79] offset:15232                    // 000000006688: D89A3B80 00004E10
	s_waitcnt lgkmcnt(0)                                       // 000000006690: BF8CC07F
	s_barrier                                                  // 000000006694: BF8A0000
	ds_read_b32 v50, v17                                       // 000000006698: D86C0000 32000011
	ds_read_b32 v51, v17 offset:64                             // 0000000066A0: D86C0040 33000011
	ds_read_b32 v54, v17 offset:2176                           // 0000000066A8: D86C0880 36000011
	ds_read_b32 v55, v17 offset:2240                           // 0000000066B0: D86C08C0 37000011
	ds_read_b32 v58, v17 offset:4352                           // 0000000066B8: D86C1100 3A000011
	ds_read_b32 v59, v17 offset:4416                           // 0000000066C0: D86C1140 3B000011
	ds_read_b32 v62, v17 offset:6528                           // 0000000066C8: D86C1980 3E000011
	ds_read_b32 v63, v17 offset:6592                           // 0000000066D0: D86C19C0 3F000011
	ds_read_b32 v66, v17 offset:8704                           // 0000000066D8: D86C2200 42000011
	ds_read_b32 v67, v17 offset:8768                           // 0000000066E0: D86C2240 43000011
	ds_read_b32 v70, v17 offset:10880                          // 0000000066E8: D86C2A80 46000011
	ds_read_b32 v71, v17 offset:10944                          // 0000000066F0: D86C2AC0 47000011
	ds_read_b32 v74, v17 offset:13056                          // 0000000066F8: D86C3300 4A000011
	ds_read_b32 v75, v17 offset:13120                          // 000000006700: D86C3340 4B000011
	ds_read_b32 v78, v17 offset:15232                          // 000000006708: D86C3B80 4E000011
	ds_read_b32 v79, v17 offset:15296                          // 000000006710: D86C3BC0 4F000011
	s_waitcnt lgkmcnt(0)                                       // 000000006718: BF8CC07F
	v_mov_b32_e32 v7, 0                                        // 00000000671C: 7E0E0280
	s_mov_b64 exec, s[16:17]                                   // 000000006720: BEFE0110
	v_mov_b32_e32 v6, v64                                      // 000000006724: 7E0C0340
	s_mov_b64 s[52:53], 0                                      // 000000006728: BEB40180
	v_readlane_b32 s72, v3, 0                                  // 00000000672C: D2890048 00010103
	s_cmp_lt_u32 s72, s62                                      // 000000006734: BF0A3E48
	s_cselect_b32 s20, s16, s52                                // 000000006738: 85143410
	v_readlane_b32 s72, v3, 1                                  // 00000000673C: D2890048 00010303
	s_cmp_lt_u32 s72, s62                                      // 000000006744: BF0A3E48
	s_cselect_b32 s21, s16, s52                                // 000000006748: 85153410
	s_mov_b64 exec, s[20:21]                                   // 00000000674C: BEFE0114
	global_atomic_add_f32 v6, v50, s[8:9] offset:8             // 000000006750: DD348008 00083206
	global_atomic_add_f32 v6, v54, s[8:9] offset:264           // 000000006758: DD348108 00083606
	s_mov_b64 exec, s[16:17]                                   // 000000006760: BEFE0110
	v_mov_b32_e32 v6, v65                                      // 000000006764: 7E0C0341
	s_mov_b64 s[52:53], 0                                      // 000000006768: BEB40180
	v_readlane_b32 s72, v3, 2                                  // 00000000676C: D2890048 00010503
	s_cmp_lt_u32 s72, s62                                      // 000000006774: BF0A3E48
	s_cselect_b32 s20, s16, s52                                // 000000006778: 85143410
	v_readlane_b32 s72, v3, 3                                  // 00000000677C: D2890048 00010703
	s_cmp_lt_u32 s72, s62                                      // 000000006784: BF0A3E48
	s_cselect_b32 s21, s16, s52                                // 000000006788: 85153410
	s_mov_b64 exec, s[20:21]                                   // 00000000678C: BEFE0114
	global_atomic_add_f32 v6, v51, s[8:9] offset:8             // 000000006790: DD348008 00083306
	global_atomic_add_f32 v6, v55, s[8:9] offset:264           // 000000006798: DD348108 00083706
	s_mov_b64 exec, s[16:17]                                   // 0000000067A0: BEFE0110
	v_mov_b32_e32 v6, v66                                      // 0000000067A4: 7E0C0342
	s_mov_b64 s[52:53], 0                                      // 0000000067A8: BEB40180
	v_readlane_b32 s72, v3, 4                                  // 0000000067AC: D2890048 00010903
	s_cmp_lt_u32 s72, s62                                      // 0000000067B4: BF0A3E48
	s_cselect_b32 s20, s16, s52                                // 0000000067B8: 85143410
	v_readlane_b32 s72, v3, 5                                  // 0000000067BC: D2890048 00010B03
	s_cmp_lt_u32 s72, s62                                      // 0000000067C4: BF0A3E48
	s_cselect_b32 s21, s16, s52                                // 0000000067C8: 85153410
	s_mov_b64 exec, s[20:21]                                   // 0000000067CC: BEFE0114
	global_atomic_add_f32 v6, v58, s[8:9] offset:8             // 0000000067D0: DD348008 00083A06
	global_atomic_add_f32 v6, v62, s[8:9] offset:264           // 0000000067D8: DD348108 00083E06
	s_mov_b64 exec, s[16:17]                                   // 0000000067E0: BEFE0110
	v_mov_b32_e32 v6, v67                                      // 0000000067E4: 7E0C0343
	s_mov_b64 s[52:53], 0                                      // 0000000067E8: BEB40180
	v_readlane_b32 s72, v3, 6                                  // 0000000067EC: D2890048 00010D03
	s_cmp_lt_u32 s72, s62                                      // 0000000067F4: BF0A3E48
	s_cselect_b32 s20, s16, s52                                // 0000000067F8: 85143410
	v_readlane_b32 s72, v3, 7                                  // 0000000067FC: D2890048 00010F03
	s_cmp_lt_u32 s72, s62                                      // 000000006804: BF0A3E48
	s_cselect_b32 s21, s16, s52                                // 000000006808: 85153410
	s_mov_b64 exec, s[20:21]                                   // 00000000680C: BEFE0114
	global_atomic_add_f32 v6, v59, s[8:9] offset:8             // 000000006810: DD348008 00083B06
	global_atomic_add_f32 v6, v63, s[8:9] offset:264           // 000000006818: DD348108 00083F06
	s_mov_b64 exec, s[16:17]                                   // 000000006820: BEFE0110
	v_mov_b32_e32 v6, v68                                      // 000000006824: 7E0C0344
	s_mov_b64 s[52:53], 0                                      // 000000006828: BEB40180
	v_readlane_b32 s72, v3, 8                                  // 00000000682C: D2890048 00011103
	s_cmp_lt_u32 s72, s62                                      // 000000006834: BF0A3E48
	s_cselect_b32 s20, s16, s52                                // 000000006838: 85143410
	v_readlane_b32 s72, v3, 9                                  // 00000000683C: D2890048 00011303
	s_cmp_lt_u32 s72, s62                                      // 000000006844: BF0A3E48
	s_cselect_b32 s21, s16, s52                                // 000000006848: 85153410
	s_mov_b64 exec, s[20:21]                                   // 00000000684C: BEFE0114
	global_atomic_add_f32 v6, v66, s[8:9] offset:8             // 000000006850: DD348008 00084206
	global_atomic_add_f32 v6, v70, s[8:9] offset:264           // 000000006858: DD348108 00084606
	s_mov_b64 exec, s[16:17]                                   // 000000006860: BEFE0110
	v_mov_b32_e32 v6, v69                                      // 000000006864: 7E0C0345
	s_mov_b64 s[52:53], 0                                      // 000000006868: BEB40180
	v_readlane_b32 s72, v3, 10                                 // 00000000686C: D2890048 00011503
	s_cmp_lt_u32 s72, s62                                      // 000000006874: BF0A3E48
	s_cselect_b32 s20, s16, s52                                // 000000006878: 85143410
	v_readlane_b32 s72, v3, 11                                 // 00000000687C: D2890048 00011703
	s_cmp_lt_u32 s72, s62                                      // 000000006884: BF0A3E48
	s_cselect_b32 s21, s16, s52                                // 000000006888: 85153410
	s_mov_b64 exec, s[20:21]                                   // 00000000688C: BEFE0114
	global_atomic_add_f32 v6, v67, s[8:9] offset:8             // 000000006890: DD348008 00084306
	global_atomic_add_f32 v6, v71, s[8:9] offset:264           // 000000006898: DD348108 00084706
	s_mov_b64 exec, s[16:17]                                   // 0000000068A0: BEFE0110
	v_mov_b32_e32 v6, v70                                      // 0000000068A4: 7E0C0346
	s_mov_b64 s[52:53], 0                                      // 0000000068A8: BEB40180
	v_readlane_b32 s72, v3, 12                                 // 0000000068AC: D2890048 00011903
	s_cmp_lt_u32 s72, s62                                      // 0000000068B4: BF0A3E48
	s_cselect_b32 s20, s16, s52                                // 0000000068B8: 85143410
	v_readlane_b32 s72, v3, 13                                 // 0000000068BC: D2890048 00011B03
	s_cmp_lt_u32 s72, s62                                      // 0000000068C4: BF0A3E48
	s_cselect_b32 s21, s16, s52                                // 0000000068C8: 85153410
	s_mov_b64 exec, s[20:21]                                   // 0000000068CC: BEFE0114
	global_atomic_add_f32 v6, v74, s[8:9] offset:8             // 0000000068D0: DD348008 00084A06
	global_atomic_add_f32 v6, v78, s[8:9] offset:264           // 0000000068D8: DD348108 00084E06
	s_mov_b64 exec, s[16:17]                                   // 0000000068E0: BEFE0110
	v_mov_b32_e32 v6, v71                                      // 0000000068E4: 7E0C0347
	s_mov_b64 s[52:53], 0                                      // 0000000068E8: BEB40180
	v_readlane_b32 s72, v3, 14                                 // 0000000068EC: D2890048 00011D03
	s_cmp_lt_u32 s72, s62                                      // 0000000068F4: BF0A3E48
	s_cselect_b32 s20, s16, s52                                // 0000000068F8: 85143410
	v_readlane_b32 s72, v3, 15                                 // 0000000068FC: D2890048 00011F03
	s_cmp_lt_u32 s72, s62                                      // 000000006904: BF0A3E48
	s_cselect_b32 s21, s16, s52                                // 000000006908: 85153410
	s_mov_b64 exec, s[20:21]                                   // 00000000690C: BEFE0114
	global_atomic_add_f32 v6, v75, s[8:9] offset:8             // 000000006910: DD348008 00084B06
	global_atomic_add_f32 v6, v79, s[8:9] offset:264           // 000000006918: DD348108 00084F06
	s_mov_b64 exec, s[16:17]                                   // 000000006920: BEFE0110
	ds_write_b64 v16, v[80:81]                                 // 000000006924: D89A0000 00005010
	ds_write_b64 v16, v[84:85] offset:4352                     // 00000000692C: D89A1100 00005410
	ds_write_b64 v16, v[88:89] offset:8704                     // 000000006934: D89A2200 00005810
	ds_write_b64 v16, v[92:93] offset:13056                    // 00000000693C: D89A3300 00005C10
	ds_write_b64 v16, v[96:97] offset:2176                     // 000000006944: D89A0880 00006010
	ds_write_b64 v16, v[100:101] offset:6528                   // 00000000694C: D89A1980 00006410
	ds_write_b64 v16, v[104:105] offset:10880                  // 000000006954: D89A2A80 00006810
	ds_write_b64 v16, v[108:109] offset:15232                  // 00000000695C: D89A3B80 00006C10
	s_waitcnt lgkmcnt(0)                                       // 000000006964: BF8CC07F
	s_barrier                                                  // 000000006968: BF8A0000
	ds_read_b32 v80, v17                                       // 00000000696C: D86C0000 50000011
	ds_read_b32 v81, v17 offset:64                             // 000000006974: D86C0040 51000011
	ds_read_b32 v84, v17 offset:2176                           // 00000000697C: D86C0880 54000011
	ds_read_b32 v85, v17 offset:2240                           // 000000006984: D86C08C0 55000011
	ds_read_b32 v88, v17 offset:4352                           // 00000000698C: D86C1100 58000011
	ds_read_b32 v89, v17 offset:4416                           // 000000006994: D86C1140 59000011
	ds_read_b32 v92, v17 offset:6528                           // 00000000699C: D86C1980 5C000011
	ds_read_b32 v93, v17 offset:6592                           // 0000000069A4: D86C19C0 5D000011
	ds_read_b32 v96, v17 offset:8704                           // 0000000069AC: D86C2200 60000011
	ds_read_b32 v97, v17 offset:8768                           // 0000000069B4: D86C2240 61000011
	ds_read_b32 v100, v17 offset:10880                         // 0000000069BC: D86C2A80 64000011
	ds_read_b32 v101, v17 offset:10944                         // 0000000069C4: D86C2AC0 65000011
	ds_read_b32 v104, v17 offset:13056                         // 0000000069CC: D86C3300 68000011
	ds_read_b32 v105, v17 offset:13120                         // 0000000069D4: D86C3340 69000011
	ds_read_b32 v108, v17 offset:15232                         // 0000000069DC: D86C3B80 6C000011
	ds_read_b32 v109, v17 offset:15296                         // 0000000069E4: D86C3BC0 6D000011
	s_mul_i32 s52, s61, 4                                      // 0000000069EC: 9234843D
	s_add_u32 s8, s52, s8                                      // 0000000069F0: 80080834
	s_addc_u32 s9, 0, s9                                       // 0000000069F4: 82090980
	s_waitcnt lgkmcnt(0)                                       // 0000000069F8: BF8CC07F
	v_mov_b32_e32 v7, 0                                        // 0000000069FC: 7E0E0280
	s_mov_b64 exec, s[16:17]                                   // 000000006A00: BEFE0110
	v_mov_b32_e32 v6, v64                                      // 000000006A04: 7E0C0340
	s_mov_b64 s[52:53], 0                                      // 000000006A08: BEB40180
	v_readlane_b32 s72, v3, 0                                  // 000000006A0C: D2890048 00010103
	s_cmp_lt_u32 s72, s62                                      // 000000006A14: BF0A3E48
	s_cselect_b32 s20, s16, s52                                // 000000006A18: 85143410
	v_readlane_b32 s72, v3, 1                                  // 000000006A1C: D2890048 00010303
	s_cmp_lt_u32 s72, s62                                      // 000000006A24: BF0A3E48
	s_cselect_b32 s21, s16, s52                                // 000000006A28: 85153410
	s_mov_b64 exec, s[20:21]                                   // 000000006A2C: BEFE0114
	global_atomic_add_f32 v6, v80, s[8:9]                      // 000000006A30: DD348000 00085006
	global_atomic_add_f32 v6, v84, s[8:9] offset:256           // 000000006A38: DD348100 00085406
	s_mov_b64 exec, s[16:17]                                   // 000000006A40: BEFE0110
	v_mov_b32_e32 v6, v65                                      // 000000006A44: 7E0C0341
	s_mov_b64 s[52:53], 0                                      // 000000006A48: BEB40180
	v_readlane_b32 s72, v3, 2                                  // 000000006A4C: D2890048 00010503
	s_cmp_lt_u32 s72, s62                                      // 000000006A54: BF0A3E48
	s_cselect_b32 s20, s16, s52                                // 000000006A58: 85143410
	v_readlane_b32 s72, v3, 3                                  // 000000006A5C: D2890048 00010703
	s_cmp_lt_u32 s72, s62                                      // 000000006A64: BF0A3E48
	s_cselect_b32 s21, s16, s52                                // 000000006A68: 85153410
	s_mov_b64 exec, s[20:21]                                   // 000000006A6C: BEFE0114
	global_atomic_add_f32 v6, v81, s[8:9]                      // 000000006A70: DD348000 00085106
	global_atomic_add_f32 v6, v85, s[8:9] offset:256           // 000000006A78: DD348100 00085506
	s_mov_b64 exec, s[16:17]                                   // 000000006A80: BEFE0110
	v_mov_b32_e32 v6, v66                                      // 000000006A84: 7E0C0342
	s_mov_b64 s[52:53], 0                                      // 000000006A88: BEB40180
	v_readlane_b32 s72, v3, 4                                  // 000000006A8C: D2890048 00010903
	s_cmp_lt_u32 s72, s62                                      // 000000006A94: BF0A3E48
	s_cselect_b32 s20, s16, s52                                // 000000006A98: 85143410
	v_readlane_b32 s72, v3, 5                                  // 000000006A9C: D2890048 00010B03
	s_cmp_lt_u32 s72, s62                                      // 000000006AA4: BF0A3E48
	s_cselect_b32 s21, s16, s52                                // 000000006AA8: 85153410
	s_mov_b64 exec, s[20:21]                                   // 000000006AAC: BEFE0114
	global_atomic_add_f32 v6, v88, s[8:9]                      // 000000006AB0: DD348000 00085806
	global_atomic_add_f32 v6, v92, s[8:9] offset:256           // 000000006AB8: DD348100 00085C06
	s_mov_b64 exec, s[16:17]                                   // 000000006AC0: BEFE0110
	v_mov_b32_e32 v6, v67                                      // 000000006AC4: 7E0C0343
	s_mov_b64 s[52:53], 0                                      // 000000006AC8: BEB40180
	v_readlane_b32 s72, v3, 6                                  // 000000006ACC: D2890048 00010D03
	s_cmp_lt_u32 s72, s62                                      // 000000006AD4: BF0A3E48
	s_cselect_b32 s20, s16, s52                                // 000000006AD8: 85143410
	v_readlane_b32 s72, v3, 7                                  // 000000006ADC: D2890048 00010F03
	s_cmp_lt_u32 s72, s62                                      // 000000006AE4: BF0A3E48
	s_cselect_b32 s21, s16, s52                                // 000000006AE8: 85153410
	s_mov_b64 exec, s[20:21]                                   // 000000006AEC: BEFE0114
	global_atomic_add_f32 v6, v89, s[8:9]                      // 000000006AF0: DD348000 00085906
	global_atomic_add_f32 v6, v93, s[8:9] offset:256           // 000000006AF8: DD348100 00085D06
	s_mov_b64 exec, s[16:17]                                   // 000000006B00: BEFE0110
	v_mov_b32_e32 v6, v68                                      // 000000006B04: 7E0C0344
	s_mov_b64 s[52:53], 0                                      // 000000006B08: BEB40180
	v_readlane_b32 s72, v3, 8                                  // 000000006B0C: D2890048 00011103
	s_cmp_lt_u32 s72, s62                                      // 000000006B14: BF0A3E48
	s_cselect_b32 s20, s16, s52                                // 000000006B18: 85143410
	v_readlane_b32 s72, v3, 9                                  // 000000006B1C: D2890048 00011303
	s_cmp_lt_u32 s72, s62                                      // 000000006B24: BF0A3E48
	s_cselect_b32 s21, s16, s52                                // 000000006B28: 85153410
	s_mov_b64 exec, s[20:21]                                   // 000000006B2C: BEFE0114
	global_atomic_add_f32 v6, v96, s[8:9]                      // 000000006B30: DD348000 00086006
	global_atomic_add_f32 v6, v100, s[8:9] offset:256          // 000000006B38: DD348100 00086406
	s_mov_b64 exec, s[16:17]                                   // 000000006B40: BEFE0110
	v_mov_b32_e32 v6, v69                                      // 000000006B44: 7E0C0345
	s_mov_b64 s[52:53], 0                                      // 000000006B48: BEB40180
	v_readlane_b32 s72, v3, 10                                 // 000000006B4C: D2890048 00011503
	s_cmp_lt_u32 s72, s62                                      // 000000006B54: BF0A3E48
	s_cselect_b32 s20, s16, s52                                // 000000006B58: 85143410
	v_readlane_b32 s72, v3, 11                                 // 000000006B5C: D2890048 00011703
	s_cmp_lt_u32 s72, s62                                      // 000000006B64: BF0A3E48
	s_cselect_b32 s21, s16, s52                                // 000000006B68: 85153410
	s_mov_b64 exec, s[20:21]                                   // 000000006B6C: BEFE0114
	global_atomic_add_f32 v6, v97, s[8:9]                      // 000000006B70: DD348000 00086106
	global_atomic_add_f32 v6, v101, s[8:9] offset:256          // 000000006B78: DD348100 00086506
	s_mov_b64 exec, s[16:17]                                   // 000000006B80: BEFE0110
	v_mov_b32_e32 v6, v70                                      // 000000006B84: 7E0C0346
	s_mov_b64 s[52:53], 0                                      // 000000006B88: BEB40180
	v_readlane_b32 s72, v3, 12                                 // 000000006B8C: D2890048 00011903
	s_cmp_lt_u32 s72, s62                                      // 000000006B94: BF0A3E48
	s_cselect_b32 s20, s16, s52                                // 000000006B98: 85143410
	v_readlane_b32 s72, v3, 13                                 // 000000006B9C: D2890048 00011B03
	s_cmp_lt_u32 s72, s62                                      // 000000006BA4: BF0A3E48
	s_cselect_b32 s21, s16, s52                                // 000000006BA8: 85153410
	s_mov_b64 exec, s[20:21]                                   // 000000006BAC: BEFE0114
	global_atomic_add_f32 v6, v104, s[8:9]                     // 000000006BB0: DD348000 00086806
	global_atomic_add_f32 v6, v108, s[8:9] offset:256          // 000000006BB8: DD348100 00086C06
	s_mov_b64 exec, s[16:17]                                   // 000000006BC0: BEFE0110
	v_mov_b32_e32 v6, v71                                      // 000000006BC4: 7E0C0347
	s_mov_b64 s[52:53], 0                                      // 000000006BC8: BEB40180
	v_readlane_b32 s72, v3, 14                                 // 000000006BCC: D2890048 00011D03
	s_cmp_lt_u32 s72, s62                                      // 000000006BD4: BF0A3E48
	s_cselect_b32 s20, s16, s52                                // 000000006BD8: 85143410
	v_readlane_b32 s72, v3, 15                                 // 000000006BDC: D2890048 00011F03
	s_cmp_lt_u32 s72, s62                                      // 000000006BE4: BF0A3E48
	s_cselect_b32 s21, s16, s52                                // 000000006BE8: 85153410
	s_mov_b64 exec, s[20:21]                                   // 000000006BEC: BEFE0114
	global_atomic_add_f32 v6, v105, s[8:9]                     // 000000006BF0: DD348000 00086906
	global_atomic_add_f32 v6, v109, s[8:9] offset:256          // 000000006BF8: DD348100 00086D06
	s_mov_b64 exec, s[16:17]                                   // 000000006C00: BEFE0110
	ds_write_b64 v16, v[82:83]                                 // 000000006C04: D89A0000 00005210
	ds_write_b64 v16, v[86:87] offset:4352                     // 000000006C0C: D89A1100 00005610
	ds_write_b64 v16, v[90:91] offset:8704                     // 000000006C14: D89A2200 00005A10
	ds_write_b64 v16, v[94:95] offset:13056                    // 000000006C1C: D89A3300 00005E10
	ds_write_b64 v16, v[98:99] offset:2176                     // 000000006C24: D89A0880 00006210
	ds_write_b64 v16, v[102:103] offset:6528                   // 000000006C2C: D89A1980 00006610
	ds_write_b64 v16, v[106:107] offset:10880                  // 000000006C34: D89A2A80 00006A10
	ds_write_b64 v16, v[110:111] offset:15232                  // 000000006C3C: D89A3B80 00006E10
	s_waitcnt lgkmcnt(0)                                       // 000000006C44: BF8CC07F
	s_barrier                                                  // 000000006C48: BF8A0000
	ds_read_b32 v82, v17                                       // 000000006C4C: D86C0000 52000011
	ds_read_b32 v83, v17 offset:64                             // 000000006C54: D86C0040 53000011
	ds_read_b32 v86, v17 offset:2176                           // 000000006C5C: D86C0880 56000011
	ds_read_b32 v87, v17 offset:2240                           // 000000006C64: D86C08C0 57000011
	ds_read_b32 v90, v17 offset:4352                           // 000000006C6C: D86C1100 5A000011
	ds_read_b32 v91, v17 offset:4416                           // 000000006C74: D86C1140 5B000011
	ds_read_b32 v94, v17 offset:6528                           // 000000006C7C: D86C1980 5E000011
	ds_read_b32 v95, v17 offset:6592                           // 000000006C84: D86C19C0 5F000011
	ds_read_b32 v98, v17 offset:8704                           // 000000006C8C: D86C2200 62000011
	ds_read_b32 v99, v17 offset:8768                           // 000000006C94: D86C2240 63000011
	ds_read_b32 v102, v17 offset:10880                         // 000000006C9C: D86C2A80 66000011
	ds_read_b32 v103, v17 offset:10944                         // 000000006CA4: D86C2AC0 67000011
	ds_read_b32 v106, v17 offset:13056                         // 000000006CAC: D86C3300 6A000011
	ds_read_b32 v107, v17 offset:13120                         // 000000006CB4: D86C3340 6B000011
	ds_read_b32 v110, v17 offset:15232                         // 000000006CBC: D86C3B80 6E000011
	ds_read_b32 v111, v17 offset:15296                         // 000000006CC4: D86C3BC0 6F000011
	s_waitcnt lgkmcnt(0)                                       // 000000006CCC: BF8CC07F
	v_mov_b32_e32 v7, 0                                        // 000000006CD0: 7E0E0280
	s_mov_b64 exec, s[16:17]                                   // 000000006CD4: BEFE0110
	v_mov_b32_e32 v6, v64                                      // 000000006CD8: 7E0C0340
	s_mov_b64 s[52:53], 0                                      // 000000006CDC: BEB40180
	v_readlane_b32 s72, v3, 0                                  // 000000006CE0: D2890048 00010103
	s_cmp_lt_u32 s72, s62                                      // 000000006CE8: BF0A3E48
	s_cselect_b32 s20, s16, s52                                // 000000006CEC: 85143410
	v_readlane_b32 s72, v3, 1                                  // 000000006CF0: D2890048 00010303
	s_cmp_lt_u32 s72, s62                                      // 000000006CF8: BF0A3E48
	s_cselect_b32 s21, s16, s52                                // 000000006CFC: 85153410
	s_mov_b64 exec, s[20:21]                                   // 000000006D00: BEFE0114
	global_atomic_add_f32 v6, v82, s[8:9] offset:8             // 000000006D04: DD348008 00085206
	global_atomic_add_f32 v6, v86, s[8:9] offset:264           // 000000006D0C: DD348108 00085606
	s_mov_b64 exec, s[16:17]                                   // 000000006D14: BEFE0110
	v_mov_b32_e32 v6, v65                                      // 000000006D18: 7E0C0341
	s_mov_b64 s[52:53], 0                                      // 000000006D1C: BEB40180
	v_readlane_b32 s72, v3, 2                                  // 000000006D20: D2890048 00010503
	s_cmp_lt_u32 s72, s62                                      // 000000006D28: BF0A3E48
	s_cselect_b32 s20, s16, s52                                // 000000006D2C: 85143410
	v_readlane_b32 s72, v3, 3                                  // 000000006D30: D2890048 00010703
	s_cmp_lt_u32 s72, s62                                      // 000000006D38: BF0A3E48
	s_cselect_b32 s21, s16, s52                                // 000000006D3C: 85153410
	s_mov_b64 exec, s[20:21]                                   // 000000006D40: BEFE0114
	global_atomic_add_f32 v6, v83, s[8:9] offset:8             // 000000006D44: DD348008 00085306
	global_atomic_add_f32 v6, v87, s[8:9] offset:264           // 000000006D4C: DD348108 00085706
	s_mov_b64 exec, s[16:17]                                   // 000000006D54: BEFE0110
	v_mov_b32_e32 v6, v66                                      // 000000006D58: 7E0C0342
	s_mov_b64 s[52:53], 0                                      // 000000006D5C: BEB40180
	v_readlane_b32 s72, v3, 4                                  // 000000006D60: D2890048 00010903
	s_cmp_lt_u32 s72, s62                                      // 000000006D68: BF0A3E48
	s_cselect_b32 s20, s16, s52                                // 000000006D6C: 85143410
	v_readlane_b32 s72, v3, 5                                  // 000000006D70: D2890048 00010B03
	s_cmp_lt_u32 s72, s62                                      // 000000006D78: BF0A3E48
	s_cselect_b32 s21, s16, s52                                // 000000006D7C: 85153410
	s_mov_b64 exec, s[20:21]                                   // 000000006D80: BEFE0114
	global_atomic_add_f32 v6, v90, s[8:9] offset:8             // 000000006D84: DD348008 00085A06
	global_atomic_add_f32 v6, v94, s[8:9] offset:264           // 000000006D8C: DD348108 00085E06
	s_mov_b64 exec, s[16:17]                                   // 000000006D94: BEFE0110
	v_mov_b32_e32 v6, v67                                      // 000000006D98: 7E0C0343
	s_mov_b64 s[52:53], 0                                      // 000000006D9C: BEB40180
	v_readlane_b32 s72, v3, 6                                  // 000000006DA0: D2890048 00010D03
	s_cmp_lt_u32 s72, s62                                      // 000000006DA8: BF0A3E48
	s_cselect_b32 s20, s16, s52                                // 000000006DAC: 85143410
	v_readlane_b32 s72, v3, 7                                  // 000000006DB0: D2890048 00010F03
	s_cmp_lt_u32 s72, s62                                      // 000000006DB8: BF0A3E48
	s_cselect_b32 s21, s16, s52                                // 000000006DBC: 85153410
	s_mov_b64 exec, s[20:21]                                   // 000000006DC0: BEFE0114
	global_atomic_add_f32 v6, v91, s[8:9] offset:8             // 000000006DC4: DD348008 00085B06
	global_atomic_add_f32 v6, v95, s[8:9] offset:264           // 000000006DCC: DD348108 00085F06
	s_mov_b64 exec, s[16:17]                                   // 000000006DD4: BEFE0110
	v_mov_b32_e32 v6, v68                                      // 000000006DD8: 7E0C0344
	s_mov_b64 s[52:53], 0                                      // 000000006DDC: BEB40180
	v_readlane_b32 s72, v3, 8                                  // 000000006DE0: D2890048 00011103
	s_cmp_lt_u32 s72, s62                                      // 000000006DE8: BF0A3E48
	s_cselect_b32 s20, s16, s52                                // 000000006DEC: 85143410
	v_readlane_b32 s72, v3, 9                                  // 000000006DF0: D2890048 00011303
	s_cmp_lt_u32 s72, s62                                      // 000000006DF8: BF0A3E48
	s_cselect_b32 s21, s16, s52                                // 000000006DFC: 85153410
	s_mov_b64 exec, s[20:21]                                   // 000000006E00: BEFE0114
	global_atomic_add_f32 v6, v98, s[8:9] offset:8             // 000000006E04: DD348008 00086206
	global_atomic_add_f32 v6, v102, s[8:9] offset:264          // 000000006E0C: DD348108 00086606
	s_mov_b64 exec, s[16:17]                                   // 000000006E14: BEFE0110
	v_mov_b32_e32 v6, v69                                      // 000000006E18: 7E0C0345
	s_mov_b64 s[52:53], 0                                      // 000000006E1C: BEB40180
	v_readlane_b32 s72, v3, 10                                 // 000000006E20: D2890048 00011503
	s_cmp_lt_u32 s72, s62                                      // 000000006E28: BF0A3E48
	s_cselect_b32 s20, s16, s52                                // 000000006E2C: 85143410
	v_readlane_b32 s72, v3, 11                                 // 000000006E30: D2890048 00011703
	s_cmp_lt_u32 s72, s62                                      // 000000006E38: BF0A3E48
	s_cselect_b32 s21, s16, s52                                // 000000006E3C: 85153410
	s_mov_b64 exec, s[20:21]                                   // 000000006E40: BEFE0114
	global_atomic_add_f32 v6, v99, s[8:9] offset:8             // 000000006E44: DD348008 00086306
	global_atomic_add_f32 v6, v103, s[8:9] offset:264          // 000000006E4C: DD348108 00086706
	s_mov_b64 exec, s[16:17]                                   // 000000006E54: BEFE0110
	v_mov_b32_e32 v6, v70                                      // 000000006E58: 7E0C0346
	s_mov_b64 s[52:53], 0                                      // 000000006E5C: BEB40180
	v_readlane_b32 s72, v3, 12                                 // 000000006E60: D2890048 00011903
	s_cmp_lt_u32 s72, s62                                      // 000000006E68: BF0A3E48
	s_cselect_b32 s20, s16, s52                                // 000000006E6C: 85143410
	v_readlane_b32 s72, v3, 13                                 // 000000006E70: D2890048 00011B03
	s_cmp_lt_u32 s72, s62                                      // 000000006E78: BF0A3E48
	s_cselect_b32 s21, s16, s52                                // 000000006E7C: 85153410
	s_mov_b64 exec, s[20:21]                                   // 000000006E80: BEFE0114
	global_atomic_add_f32 v6, v106, s[8:9] offset:8            // 000000006E84: DD348008 00086A06
	global_atomic_add_f32 v6, v110, s[8:9] offset:264          // 000000006E8C: DD348108 00086E06
	s_mov_b64 exec, s[16:17]                                   // 000000006E94: BEFE0110
	v_mov_b32_e32 v6, v71                                      // 000000006E98: 7E0C0347
	s_mov_b64 s[52:53], 0                                      // 000000006E9C: BEB40180
	v_readlane_b32 s72, v3, 14                                 // 000000006EA0: D2890048 00011D03
	s_cmp_lt_u32 s72, s62                                      // 000000006EA8: BF0A3E48
	s_cselect_b32 s20, s16, s52                                // 000000006EAC: 85143410
	v_readlane_b32 s72, v3, 15                                 // 000000006EB0: D2890048 00011F03
	s_cmp_lt_u32 s72, s62                                      // 000000006EB8: BF0A3E48
	s_cselect_b32 s21, s16, s52                                // 000000006EBC: 85153410
	s_mov_b64 exec, s[20:21]                                   // 000000006EC0: BEFE0114
	global_atomic_add_f32 v6, v107, s[8:9] offset:8            // 000000006EC4: DD348008 00086B06
	global_atomic_add_f32 v6, v111, s[8:9] offset:264          // 000000006ECC: DD348108 00086F06
	s_mov_b64 exec, s[16:17]                                   // 000000006ED4: BEFE0110
	s_branch label_117A                                        // 000000006ED8: BF820000

0000000000006edc <label_117A>:
	s_waitcnt vmcnt(0) expcnt(0) lgkmcnt(0)                    // 000000006EDC: BF8C0000
	s_endpgm                                                   // 000000006EE0: BF810000
